;; amdgpu-corpus repo=ROCm/rocFFT kind=compiled arch=gfx906 opt=O3
	.text
	.amdgcn_target "amdgcn-amd-amdhsa--gfx906"
	.amdhsa_code_object_version 6
	.protected	bluestein_single_back_len425_dim1_half_op_CI_CI ; -- Begin function bluestein_single_back_len425_dim1_half_op_CI_CI
	.globl	bluestein_single_back_len425_dim1_half_op_CI_CI
	.p2align	8
	.type	bluestein_single_back_len425_dim1_half_op_CI_CI,@function
bluestein_single_back_len425_dim1_half_op_CI_CI: ; @bluestein_single_back_len425_dim1_half_op_CI_CI
; %bb.0:
	v_mul_u32_u24_e32 v1, 0xf10, v0
	s_mov_b64 s[42:43], s[2:3]
	s_load_dwordx4 s[8:11], s[4:5], 0x28
	v_lshrrev_b32_e32 v1, 16, v1
	s_mov_b64 s[40:41], s[0:1]
	v_mad_u64_u32 v[38:39], s[0:1], s6, 3, v[1:2]
	v_mov_b32_e32 v39, 0
	s_add_u32 s40, s40, s7
	s_waitcnt lgkmcnt(0)
	v_cmp_gt_u64_e32 vcc, s[8:9], v[38:39]
	s_addc_u32 s41, s41, 0
	s_and_saveexec_b64 s[0:1], vcc
	s_cbranch_execz .LBB0_15
; %bb.1:
	s_load_dwordx4 s[0:3], s[4:5], 0x18
	v_mul_lo_u16_e32 v1, 17, v1
	v_sub_u16_e32 v71, v0, v1
	v_lshlrev_b32_e32 v53, 2, v71
	s_waitcnt lgkmcnt(0)
	s_load_dwordx4 s[12:15], s[0:1], 0x0
	s_waitcnt lgkmcnt(0)
	v_mad_u64_u32 v[4:5], s[0:1], s12, v71, 0
	v_mad_u64_u32 v[0:1], s[0:1], s14, v38, 0
	v_mov_b32_e32 v2, v5
	v_mad_u64_u32 v[5:6], s[0:1], s15, v38, v[1:2]
	v_mad_u64_u32 v[2:3], s[0:1], s13, v71, v[2:3]
	v_mov_b32_e32 v1, v5
	v_lshlrev_b64 v[0:1], 2, v[0:1]
	s_load_dwordx2 s[14:15], s[4:5], 0x0
	v_mov_b32_e32 v3, s11
	v_mov_b32_e32 v5, v2
	v_add_co_u32_e32 v2, vcc, s10, v0
	v_addc_co_u32_e32 v3, vcc, v3, v1, vcc
	v_lshlrev_b64 v[0:1], 2, v[4:5]
	s_mul_i32 s0, s13, 25
	s_mul_hi_u32 s1, s12, 25
	v_add_co_u32_e32 v0, vcc, v2, v0
	s_add_i32 s1, s1, s0
	s_mul_i32 s0, s12, 25
	v_addc_co_u32_e32 v1, vcc, v3, v1, vcc
	s_lshl_b64 s[16:17], s[0:1], 2
	global_load_dword v4, v[0:1], off
	s_waitcnt lgkmcnt(0)
	global_load_dword v89, v53, s[14:15]
	v_mov_b32_e32 v5, s17
	v_add_co_u32_e32 v0, vcc, s16, v0
	v_addc_co_u32_e32 v1, vcc, v1, v5, vcc
	global_load_dword v6, v[0:1], off
	global_load_dword v88, v53, s[14:15] offset:100
	v_add_co_u32_e32 v0, vcc, s16, v0
	v_addc_co_u32_e32 v1, vcc, v1, v5, vcc
	global_load_dword v7, v[0:1], off
	global_load_dword v87, v53, s[14:15] offset:200
	v_add_co_u32_e32 v0, vcc, s16, v0
	v_addc_co_u32_e32 v1, vcc, v1, v5, vcc
	global_load_dword v8, v[0:1], off
	global_load_dword v86, v53, s[14:15] offset:300
	s_mov_b32 s0, 0xaaaaaaab
	v_mul_hi_u32 v9, v38, s0
	v_mov_b32_e32 v10, s15
	v_add_co_u32_e32 v36, vcc, s14, v53
	v_addc_co_u32_e32 v37, vcc, 0, v10, vcc
	v_add_co_u32_e32 v0, vcc, s16, v0
	v_lshrrev_b32_e32 v9, 1, v9
	v_addc_co_u32_e32 v1, vcc, v1, v5, vcc
	s_load_dwordx2 s[6:7], s[4:5], 0x38
	s_load_dwordx4 s[8:11], s[2:3], 0x0
	global_load_dword v85, v53, s[14:15] offset:400
	global_load_dword v84, v53, s[14:15] offset:500
	;; [unrolled: 1-line block ×4, first 2 shown]
	v_lshl_add_u32 v9, v9, 1, v9
	global_load_dword v10, v[0:1], off
	v_sub_u32_e32 v9, v38, v9
	v_mul_u32_u24_e32 v9, 0x1a9, v9
	v_add_co_u32_e32 v0, vcc, s16, v0
	v_lshlrev_b32_e32 v9, 2, v9
	v_addc_co_u32_e32 v1, vcc, v1, v5, vcc
	buffer_store_dword v9, off, s[40:43], 0 ; 4-byte Folded Spill
	v_add_u32_e32 v72, v53, v9
	global_load_dword v9, v[0:1], off
	v_add_co_u32_e32 v0, vcc, s16, v0
	v_addc_co_u32_e32 v1, vcc, v1, v5, vcc
	global_load_dword v11, v[0:1], off
	v_add_co_u32_e32 v0, vcc, s16, v0
	v_addc_co_u32_e32 v1, vcc, v1, v5, vcc
	s_waitcnt vmcnt(15)
	v_lshrrev_b32_e32 v12, 16, v4
	s_waitcnt vmcnt(14)
	v_mul_f16_sdwa v13, v89, v4 dst_sel:DWORD dst_unused:UNUSED_PAD src0_sel:WORD_1 src1_sel:DWORD
	v_mul_f16_sdwa v14, v89, v12 dst_sel:DWORD dst_unused:UNUSED_PAD src0_sel:WORD_1 src1_sel:DWORD
	v_fma_f16 v12, v89, v12, -v13
	v_fma_f16 v4, v89, v4, v14
	v_pack_b32_f16 v4, v4, v12
	s_waitcnt vmcnt(13)
	v_lshrrev_b32_e32 v13, 16, v6
	s_waitcnt vmcnt(12)
	v_mul_f16_sdwa v15, v88, v6 dst_sel:DWORD dst_unused:UNUSED_PAD src0_sel:WORD_1 src1_sel:DWORD
	v_mul_f16_sdwa v14, v88, v13 dst_sel:DWORD dst_unused:UNUSED_PAD src0_sel:WORD_1 src1_sel:DWORD
	v_fma_f16 v13, v88, v13, -v15
	v_fma_f16 v6, v88, v6, v14
	v_pack_b32_f16 v6, v6, v13
	ds_write2_b32 v72, v4, v6 offset1:25
	global_load_dword v6, v[0:1], off
	s_waitcnt vmcnt(12)
	v_lshrrev_b32_e32 v15, 16, v7
	v_add_co_u32_e32 v0, vcc, s16, v0
	s_waitcnt vmcnt(11)
	v_mul_f16_sdwa v12, v87, v15 dst_sel:DWORD dst_unused:UNUSED_PAD src0_sel:WORD_1 src1_sel:DWORD
	v_addc_co_u32_e32 v1, vcc, v1, v5, vcc
	v_mul_f16_sdwa v16, v87, v7 dst_sel:DWORD dst_unused:UNUSED_PAD src0_sel:WORD_1 src1_sel:DWORD
	v_fma_f16 v7, v87, v7, v12
	global_load_dword v12, v[0:1], off
	global_load_dword v28, v53, s[14:15] offset:800
	v_add_co_u32_e32 v0, vcc, s16, v0
	v_addc_co_u32_e32 v1, vcc, v1, v5, vcc
	global_load_dword v13, v[0:1], off
	global_load_dword v27, v53, s[14:15] offset:900
	v_add_co_u32_e32 v0, vcc, s16, v0
	v_fma_f16 v14, v87, v15, -v16
	v_addc_co_u32_e32 v1, vcc, v1, v5, vcc
	v_pack_b32_f16 v4, v7, v14
	global_load_dword v14, v[0:1], off
	global_load_dword v26, v53, s[14:15] offset:1000
	v_add_co_u32_e32 v0, vcc, s16, v0
	v_addc_co_u32_e32 v1, vcc, v1, v5, vcc
	s_waitcnt vmcnt(16)
	v_lshrrev_b32_e32 v15, 16, v8
	global_load_dword v16, v[0:1], off
	global_load_dword v24, v53, s[14:15] offset:1100
	s_waitcnt vmcnt(17)
	v_mul_f16_sdwa v7, v86, v15 dst_sel:DWORD dst_unused:UNUSED_PAD src0_sel:WORD_1 src1_sel:DWORD
	v_fma_f16 v7, v86, v8, v7
	v_mul_f16_sdwa v8, v86, v8 dst_sel:DWORD dst_unused:UNUSED_PAD src0_sel:WORD_1 src1_sel:DWORD
	v_add_co_u32_e32 v0, vcc, s16, v0
	v_fma_f16 v8, v86, v15, -v8
	v_addc_co_u32_e32 v1, vcc, v1, v5, vcc
	v_pack_b32_f16 v7, v7, v8
	global_load_dword v8, v[0:1], off
	global_load_dword v25, v53, s[14:15] offset:1200
	v_add_co_u32_e32 v0, vcc, s16, v0
	v_addc_co_u32_e32 v1, vcc, v1, v5, vcc
	global_load_dword v15, v[0:1], off
	global_load_dword v23, v53, s[14:15] offset:1300
	v_add_co_u32_e32 v0, vcc, s16, v0
	ds_write2_b32 v72, v4, v7 offset0:50 offset1:75
	v_addc_co_u32_e32 v1, vcc, v1, v5, vcc
	global_load_dword v7, v[0:1], off
	global_load_dword v22, v53, s[14:15] offset:1400
	v_add_co_u32_e32 v0, vcc, s16, v0
	v_addc_co_u32_e32 v1, vcc, v1, v5, vcc
	global_load_dword v17, v[0:1], off
	global_load_dword v21, v53, s[14:15] offset:1500
	v_add_co_u32_e32 v0, vcc, s16, v0
	v_addc_co_u32_e32 v1, vcc, v1, v5, vcc
	global_load_dword v19, v[0:1], off
	global_load_dword v20, v53, s[14:15] offset:1600
	s_waitcnt vmcnt(22)
	v_lshrrev_b32_e32 v4, 16, v10
	v_mul_f16_sdwa v18, v85, v4 dst_sel:DWORD dst_unused:UNUSED_PAD src0_sel:WORD_1 src1_sel:DWORD
	v_fma_f16 v5, v85, v10, v18
	v_mul_f16_sdwa v10, v85, v10 dst_sel:DWORD dst_unused:UNUSED_PAD src0_sel:WORD_1 src1_sel:DWORD
	v_fma_f16 v4, v85, v4, -v10
	v_pack_b32_f16 v4, v5, v4
	s_waitcnt vmcnt(20)
	v_lshrrev_b32_e32 v5, 16, v9
	v_mul_f16_sdwa v10, v84, v5 dst_sel:DWORD dst_unused:UNUSED_PAD src0_sel:WORD_1 src1_sel:DWORD
	v_fma_f16 v10, v84, v9, v10
	v_mul_f16_sdwa v9, v84, v9 dst_sel:DWORD dst_unused:UNUSED_PAD src0_sel:WORD_1 src1_sel:DWORD
	v_fma_f16 v5, v84, v5, -v9
	v_pack_b32_f16 v5, v10, v5
	ds_write2_b32 v72, v4, v5 offset0:100 offset1:125
	s_waitcnt vmcnt(19)
	v_lshrrev_b32_e32 v4, 16, v11
	v_mul_f16_sdwa v5, v30, v4 dst_sel:DWORD dst_unused:UNUSED_PAD src0_sel:WORD_1 src1_sel:DWORD
	v_mul_f16_sdwa v9, v30, v11 dst_sel:DWORD dst_unused:UNUSED_PAD src0_sel:WORD_1 src1_sel:DWORD
	v_fma_f16 v5, v30, v11, v5
	v_fma_f16 v4, v30, v4, -v9
	v_pack_b32_f16 v4, v5, v4
	v_cmp_gt_u16_e32 vcc, 8, v71
	buffer_store_dword v30, off, s[40:43], 0 offset:48 ; 4-byte Folded Spill
	s_waitcnt vmcnt(19)
	v_lshrrev_b32_e32 v5, 16, v6
	v_mul_f16_sdwa v9, v29, v5 dst_sel:DWORD dst_unused:UNUSED_PAD src0_sel:WORD_1 src1_sel:DWORD
	v_fma_f16 v9, v29, v6, v9
	v_mul_f16_sdwa v6, v29, v6 dst_sel:DWORD dst_unused:UNUSED_PAD src0_sel:WORD_1 src1_sel:DWORD
	v_fma_f16 v5, v29, v5, -v6
	v_pack_b32_f16 v5, v9, v5
	ds_write2_b32 v72, v4, v5 offset0:150 offset1:175
	buffer_store_dword v29, off, s[40:43], 0 offset:44 ; 4-byte Folded Spill
	s_waitcnt vmcnt(19)
	v_lshrrev_b32_e32 v4, 16, v12
	s_waitcnt vmcnt(18)
	v_mul_f16_sdwa v5, v28, v4 dst_sel:DWORD dst_unused:UNUSED_PAD src0_sel:WORD_1 src1_sel:DWORD
	v_mul_f16_sdwa v6, v28, v12 dst_sel:DWORD dst_unused:UNUSED_PAD src0_sel:WORD_1 src1_sel:DWORD
	v_fma_f16 v5, v28, v12, v5
	v_fma_f16 v4, v28, v4, -v6
	v_pack_b32_f16 v4, v5, v4
	s_waitcnt vmcnt(17)
	v_lshrrev_b32_e32 v5, 16, v13
	s_waitcnt vmcnt(16)
	v_mul_f16_sdwa v6, v27, v5 dst_sel:DWORD dst_unused:UNUSED_PAD src0_sel:WORD_1 src1_sel:DWORD
	v_mul_f16_sdwa v9, v27, v13 dst_sel:DWORD dst_unused:UNUSED_PAD src0_sel:WORD_1 src1_sel:DWORD
	v_fma_f16 v6, v27, v13, v6
	v_fma_f16 v5, v27, v5, -v9
	v_pack_b32_f16 v5, v6, v5
	ds_write2_b32 v72, v4, v5 offset0:200 offset1:225
	s_waitcnt vmcnt(15)
	v_lshrrev_b32_e32 v4, 16, v14
	s_waitcnt vmcnt(14)
	v_mul_f16_sdwa v5, v26, v4 dst_sel:DWORD dst_unused:UNUSED_PAD src0_sel:WORD_1 src1_sel:DWORD
	v_mul_f16_sdwa v6, v26, v14 dst_sel:DWORD dst_unused:UNUSED_PAD src0_sel:WORD_1 src1_sel:DWORD
	v_fma_f16 v5, v26, v14, v5
	v_fma_f16 v4, v26, v4, -v6
	v_pack_b32_f16 v5, v5, v4
	s_waitcnt vmcnt(13)
	v_lshrrev_b32_e32 v4, 16, v16
	s_waitcnt vmcnt(12)
	v_mul_f16_sdwa v6, v24, v4 dst_sel:DWORD dst_unused:UNUSED_PAD src0_sel:WORD_1 src1_sel:DWORD
	v_mul_f16_sdwa v9, v24, v16 dst_sel:DWORD dst_unused:UNUSED_PAD src0_sel:WORD_1 src1_sel:DWORD
	v_fma_f16 v6, v24, v16, v6
	v_fma_f16 v4, v24, v4, -v9
	v_pack_b32_f16 v6, v6, v4
	v_add_u32_e32 v4, 0x200, v72
	ds_write2_b32 v4, v5, v6 offset0:122 offset1:147
	buffer_store_dword v28, off, s[40:43], 0 offset:40 ; 4-byte Folded Spill
	s_waitcnt vmcnt(12)
	v_lshrrev_b32_e32 v5, 16, v8
	s_waitcnt vmcnt(11)
	v_mul_f16_sdwa v6, v25, v5 dst_sel:DWORD dst_unused:UNUSED_PAD src0_sel:WORD_1 src1_sel:DWORD
	v_fma_f16 v6, v25, v8, v6
	v_mul_f16_sdwa v8, v25, v8 dst_sel:DWORD dst_unused:UNUSED_PAD src0_sel:WORD_1 src1_sel:DWORD
	v_fma_f16 v5, v25, v5, -v8
	v_pack_b32_f16 v6, v6, v5
	s_waitcnt vmcnt(10)
	v_lshrrev_b32_e32 v5, 16, v15
	s_waitcnt vmcnt(9)
	v_mul_f16_sdwa v8, v23, v5 dst_sel:DWORD dst_unused:UNUSED_PAD src0_sel:WORD_1 src1_sel:DWORD
	v_mul_f16_sdwa v9, v23, v15 dst_sel:DWORD dst_unused:UNUSED_PAD src0_sel:WORD_1 src1_sel:DWORD
	v_fma_f16 v8, v23, v15, v8
	v_fma_f16 v5, v23, v5, -v9
	v_pack_b32_f16 v8, v8, v5
	v_add_u32_e32 v5, 0x400, v72
	ds_write2_b32 v5, v6, v8 offset0:44 offset1:69
	s_waitcnt vmcnt(8)
	v_lshrrev_b32_e32 v6, 16, v7
	s_waitcnt vmcnt(7)
	v_mul_f16_sdwa v8, v22, v6 dst_sel:DWORD dst_unused:UNUSED_PAD src0_sel:WORD_1 src1_sel:DWORD
	v_fma_f16 v8, v22, v7, v8
	v_mul_f16_sdwa v7, v22, v7 dst_sel:DWORD dst_unused:UNUSED_PAD src0_sel:WORD_1 src1_sel:DWORD
	v_fma_f16 v6, v22, v6, -v7
	s_waitcnt vmcnt(6)
	v_lshrrev_b32_e32 v7, 16, v17
	v_pack_b32_f16 v6, v8, v6
	s_waitcnt vmcnt(5)
	v_mul_f16_sdwa v8, v21, v7 dst_sel:DWORD dst_unused:UNUSED_PAD src0_sel:WORD_1 src1_sel:DWORD
	v_mul_f16_sdwa v9, v21, v17 dst_sel:DWORD dst_unused:UNUSED_PAD src0_sel:WORD_1 src1_sel:DWORD
	v_fma_f16 v8, v21, v17, v8
	v_fma_f16 v7, v21, v7, -v9
	v_pack_b32_f16 v7, v8, v7
	ds_write2_b32 v5, v6, v7 offset0:94 offset1:119
	s_waitcnt vmcnt(4)
	v_lshrrev_b32_e32 v6, 16, v19
	s_waitcnt vmcnt(3)
	v_mul_f16_sdwa v7, v20, v6 dst_sel:DWORD dst_unused:UNUSED_PAD src0_sel:WORD_1 src1_sel:DWORD
	v_mul_f16_sdwa v8, v20, v19 dst_sel:DWORD dst_unused:UNUSED_PAD src0_sel:WORD_1 src1_sel:DWORD
	v_fma_f16 v7, v20, v19, v7
	v_fma_f16 v6, v20, v6, -v8
	v_pack_b32_f16 v6, v7, v6
	buffer_store_dword v27, off, s[40:43], 0 offset:36 ; 4-byte Folded Spill
	buffer_store_dword v26, off, s[40:43], 0 offset:32 ; 4-byte Folded Spill
	;; [unrolled: 1-line block ×8, first 2 shown]
	ds_write_b32 v72, v6 offset:1600
	s_and_saveexec_b64 s[2:3], vcc
	s_cbranch_execz .LBB0_3
; %bb.2:
	v_mov_b32_e32 v6, 0xfffffa04
	v_mad_u64_u32 v[0:1], s[0:1], s12, v6, v[0:1]
	s_mul_i32 s0, s13, 0xfffffa04
	s_sub_i32 s0, s0, s12
	v_add_u32_e32 v1, s0, v1
	global_load_dword v9, v[0:1], off
	global_load_dword v10, v[36:37], off offset:68
	v_mov_b32_e32 v11, s17
	v_add_co_u32_e64 v0, s[0:1], s16, v0
	v_addc_co_u32_e64 v1, s[0:1], v1, v11, s[0:1]
	global_load_dword v12, v[0:1], off
	global_load_dword v13, v[36:37], off offset:168
	v_add_co_u32_e64 v0, s[0:1], s16, v0
	v_addc_co_u32_e64 v1, s[0:1], v1, v11, s[0:1]
	global_load_dword v14, v[0:1], off
	global_load_dword v15, v[36:37], off offset:268
	;; [unrolled: 4-line block ×3, first 2 shown]
	v_or_b32_e32 v8, 0xc0, v71
	v_mad_u64_u32 v[6:7], s[0:1], s12, v8, 0
	global_load_dword v18, v[36:37], off offset:468
	global_load_dword v19, v[36:37], off offset:568
	global_load_dword v20, v[36:37], off offset:668
	global_load_dword v21, v[36:37], off offset:768
	v_mov_b32_e32 v22, 0xc8
	v_mad_u64_u32 v[7:8], s[0:1], s13, v8, v[7:8]
	v_add_co_u32_e64 v0, s[0:1], s16, v0
	v_addc_co_u32_e64 v1, s[0:1], v1, v11, s[0:1]
	global_load_dword v23, v[0:1], off
	v_add_co_u32_e64 v0, s[0:1], s16, v0
	v_addc_co_u32_e64 v1, s[0:1], v1, v11, s[0:1]
	global_load_dword v24, v[0:1], off
	v_add_co_u32_e64 v0, s[0:1], s16, v0
	v_addc_co_u32_e64 v1, s[0:1], v1, v11, s[0:1]
	v_lshlrev_b64 v[6:7], 2, v[6:7]
	global_load_dword v25, v[0:1], off
	v_mad_u64_u32 v[0:1], s[0:1], s12, v22, v[0:1]
	v_add_co_u32_e64 v6, s[0:1], v2, v6
	v_addc_co_u32_e64 v7, s[0:1], v3, v7, s[0:1]
	global_load_dword v26, v[6:7], off
	s_mul_i32 s17, s13, 0xc8
	v_add_u32_e32 v1, s17, v1
	global_load_dword v27, v[0:1], off
	v_add_co_u32_e64 v0, s[0:1], s16, v0
	v_addc_co_u32_e64 v1, s[0:1], v1, v11, s[0:1]
	s_waitcnt vmcnt(16)
	v_lshrrev_b32_e32 v6, 16, v9
	s_waitcnt vmcnt(15)
	v_mul_f16_sdwa v7, v10, v9 dst_sel:DWORD dst_unused:UNUSED_PAD src0_sel:WORD_1 src1_sel:DWORD
	v_mul_f16_sdwa v8, v10, v6 dst_sel:DWORD dst_unused:UNUSED_PAD src0_sel:WORD_1 src1_sel:DWORD
	v_fma_f16 v6, v10, v6, -v7
	v_fma_f16 v8, v10, v9, v8
	v_pack_b32_f16 v6, v8, v6
	s_waitcnt vmcnt(14)
	v_lshrrev_b32_e32 v7, 16, v12
	s_waitcnt vmcnt(13)
	v_mul_f16_sdwa v28, v13, v12 dst_sel:DWORD dst_unused:UNUSED_PAD src0_sel:WORD_1 src1_sel:DWORD
	v_mul_f16_sdwa v9, v13, v7 dst_sel:DWORD dst_unused:UNUSED_PAD src0_sel:WORD_1 src1_sel:DWORD
	v_fma_f16 v7, v13, v7, -v28
	v_fma_f16 v8, v13, v12, v9
	s_waitcnt vmcnt(12)
	v_lshrrev_b32_e32 v10, 16, v14
	s_waitcnt vmcnt(11)
	v_mul_f16_sdwa v9, v15, v10 dst_sel:DWORD dst_unused:UNUSED_PAD src0_sel:WORD_1 src1_sel:DWORD
	v_pack_b32_f16 v7, v8, v7
	v_mul_f16_sdwa v28, v15, v14 dst_sel:DWORD dst_unused:UNUSED_PAD src0_sel:WORD_1 src1_sel:DWORD
	v_fma_f16 v8, v15, v14, v9
	s_waitcnt vmcnt(10)
	v_lshrrev_b32_e32 v12, 16, v16
	s_waitcnt vmcnt(9)
	v_mul_f16_sdwa v9, v17, v12 dst_sel:DWORD dst_unused:UNUSED_PAD src0_sel:WORD_1 src1_sel:DWORD
	ds_write2_b32 v72, v6, v7 offset0:17 offset1:42
	v_fma_f16 v10, v15, v10, -v28
	v_mul_f16_sdwa v13, v17, v16 dst_sel:DWORD dst_unused:UNUSED_PAD src0_sel:WORD_1 src1_sel:DWORD
	v_fma_f16 v9, v17, v16, v9
	global_load_dword v14, v[0:1], off
	global_load_dword v15, v[36:37], off offset:868
	global_load_dword v16, v[36:37], off offset:968
	v_add_co_u32_e64 v0, s[0:1], s16, v0
	v_addc_co_u32_e64 v1, s[0:1], v1, v11, s[0:1]
	global_load_dword v28, v[0:1], off
	v_add_co_u32_e64 v0, s[0:1], s16, v0
	v_addc_co_u32_e64 v1, s[0:1], v1, v11, s[0:1]
	global_load_dword v29, v[0:1], off
	global_load_dword v30, v[36:37], off offset:1068
	global_load_dword v31, v[36:37], off offset:1168
	v_add_co_u32_e64 v0, s[0:1], s16, v0
	v_addc_co_u32_e64 v1, s[0:1], v1, v11, s[0:1]
	v_pack_b32_f16 v10, v8, v10
	global_load_dword v32, v[0:1], off
	v_add_co_u32_e64 v0, s[0:1], s16, v0
	v_or_b32_e32 v8, 0x188, v71
	v_addc_co_u32_e64 v1, s[0:1], v1, v11, s[0:1]
	v_mad_u64_u32 v[6:7], s[0:1], s12, v8, 0
	global_load_dword v33, v[0:1], off
	global_load_dword v34, v[36:37], off offset:1268
	global_load_dword v35, v[36:37], off offset:1368
	v_mad_u64_u32 v[7:8], s[0:1], s13, v8, v[7:8]
	v_add_co_u32_e64 v0, s[0:1], s16, v0
	v_addc_co_u32_e64 v1, s[0:1], v1, v11, s[0:1]
	global_load_dword v8, v[0:1], off
	global_load_dword v11, v[36:37], off offset:1468
	v_lshlrev_b64 v[6:7], 2, v[6:7]
	v_add_co_u32_e64 v2, s[0:1], v2, v6
	v_addc_co_u32_e64 v3, s[0:1], v3, v7, s[0:1]
	global_load_dword v6, v[2:3], off
	global_load_dword v7, v[36:37], off offset:1568
	v_mad_u64_u32 v[0:1], s[0:1], s12, v22, v[0:1]
	v_fma_f16 v2, v17, v12, -v13
	v_pack_b32_f16 v2, v9, v2
	ds_write2_b32 v72, v10, v2 offset0:67 offset1:92
	v_add_u32_e32 v1, s17, v1
	global_load_dword v2, v[0:1], off
	global_load_dword v3, v[36:37], off offset:1668
	s_waitcnt vmcnt(21)
	v_lshrrev_b32_e32 v0, 16, v23
	v_mul_f16_sdwa v1, v18, v0 dst_sel:DWORD dst_unused:UNUSED_PAD src0_sel:WORD_1 src1_sel:DWORD
	v_mul_f16_sdwa v9, v18, v23 dst_sel:DWORD dst_unused:UNUSED_PAD src0_sel:WORD_1 src1_sel:DWORD
	v_fma_f16 v1, v18, v23, v1
	v_fma_f16 v0, v18, v0, -v9
	v_pack_b32_f16 v0, v1, v0
	s_waitcnt vmcnt(20)
	v_lshrrev_b32_e32 v1, 16, v24
	v_mul_f16_sdwa v9, v19, v1 dst_sel:DWORD dst_unused:UNUSED_PAD src0_sel:WORD_1 src1_sel:DWORD
	v_mul_f16_sdwa v10, v19, v24 dst_sel:DWORD dst_unused:UNUSED_PAD src0_sel:WORD_1 src1_sel:DWORD
	v_fma_f16 v9, v19, v24, v9
	v_fma_f16 v1, v19, v1, -v10
	v_pack_b32_f16 v1, v9, v1
	ds_write2_b32 v72, v0, v1 offset0:117 offset1:142
	s_waitcnt vmcnt(19)
	v_lshrrev_b32_e32 v0, 16, v25
	v_mul_f16_sdwa v1, v20, v0 dst_sel:DWORD dst_unused:UNUSED_PAD src0_sel:WORD_1 src1_sel:DWORD
	v_mul_f16_sdwa v9, v20, v25 dst_sel:DWORD dst_unused:UNUSED_PAD src0_sel:WORD_1 src1_sel:DWORD
	v_fma_f16 v1, v20, v25, v1
	v_fma_f16 v0, v20, v0, -v9
	v_pack_b32_f16 v0, v1, v0
	s_waitcnt vmcnt(18)
	v_lshrrev_b32_e32 v1, 16, v26
	v_mul_f16_sdwa v9, v21, v1 dst_sel:DWORD dst_unused:UNUSED_PAD src0_sel:WORD_1 src1_sel:DWORD
	v_mul_f16_sdwa v10, v21, v26 dst_sel:DWORD dst_unused:UNUSED_PAD src0_sel:WORD_1 src1_sel:DWORD
	v_fma_f16 v9, v21, v26, v9
	v_fma_f16 v1, v21, v1, -v10
	v_pack_b32_f16 v1, v9, v1
	ds_write2_b32 v72, v0, v1 offset0:167 offset1:192
	s_waitcnt vmcnt(17)
	v_lshrrev_b32_e32 v0, 16, v27
	s_waitcnt vmcnt(15)
	v_mul_f16_sdwa v1, v15, v0 dst_sel:DWORD dst_unused:UNUSED_PAD src0_sel:WORD_1 src1_sel:DWORD
	v_mul_f16_sdwa v9, v15, v27 dst_sel:DWORD dst_unused:UNUSED_PAD src0_sel:WORD_1 src1_sel:DWORD
	v_fma_f16 v1, v15, v27, v1
	v_fma_f16 v0, v15, v0, -v9
	v_pack_b32_f16 v0, v1, v0
	v_lshrrev_b32_e32 v1, 16, v14
	s_waitcnt vmcnt(14)
	v_mul_f16_sdwa v9, v16, v1 dst_sel:DWORD dst_unused:UNUSED_PAD src0_sel:WORD_1 src1_sel:DWORD
	v_mul_f16_sdwa v10, v16, v14 dst_sel:DWORD dst_unused:UNUSED_PAD src0_sel:WORD_1 src1_sel:DWORD
	v_fma_f16 v9, v16, v14, v9
	v_fma_f16 v1, v16, v1, -v10
	v_pack_b32_f16 v1, v9, v1
	ds_write2_b32 v72, v0, v1 offset0:217 offset1:242
	s_waitcnt vmcnt(13)
	v_lshrrev_b32_e32 v0, 16, v28
	s_waitcnt vmcnt(11)
	v_mul_f16_sdwa v1, v30, v0 dst_sel:DWORD dst_unused:UNUSED_PAD src0_sel:WORD_1 src1_sel:DWORD
	v_mul_f16_sdwa v9, v30, v28 dst_sel:DWORD dst_unused:UNUSED_PAD src0_sel:WORD_1 src1_sel:DWORD
	v_fma_f16 v1, v30, v28, v1
	v_fma_f16 v0, v30, v0, -v9
	v_pack_b32_f16 v0, v1, v0
	v_lshrrev_b32_e32 v1, 16, v29
	s_waitcnt vmcnt(10)
	;; [unrolled: 16-line block ×3, first 2 shown]
	v_mul_f16_sdwa v9, v35, v1 dst_sel:DWORD dst_unused:UNUSED_PAD src0_sel:WORD_1 src1_sel:DWORD
	v_mul_f16_sdwa v10, v35, v33 dst_sel:DWORD dst_unused:UNUSED_PAD src0_sel:WORD_1 src1_sel:DWORD
	v_fma_f16 v9, v35, v33, v9
	v_fma_f16 v1, v35, v1, -v10
	v_pack_b32_f16 v1, v9, v1
	ds_write2_b32 v5, v0, v1 offset0:61 offset1:86
	s_waitcnt vmcnt(5)
	v_lshrrev_b32_e32 v0, 16, v8
	s_waitcnt vmcnt(4)
	v_mul_f16_sdwa v1, v11, v0 dst_sel:DWORD dst_unused:UNUSED_PAD src0_sel:WORD_1 src1_sel:DWORD
	v_fma_f16 v1, v11, v8, v1
	v_mul_f16_sdwa v8, v11, v8 dst_sel:DWORD dst_unused:UNUSED_PAD src0_sel:WORD_1 src1_sel:DWORD
	v_fma_f16 v0, v11, v0, -v8
	v_pack_b32_f16 v0, v1, v0
	s_waitcnt vmcnt(3)
	v_lshrrev_b32_e32 v1, 16, v6
	s_waitcnt vmcnt(2)
	v_mul_f16_sdwa v8, v7, v1 dst_sel:DWORD dst_unused:UNUSED_PAD src0_sel:WORD_1 src1_sel:DWORD
	v_fma_f16 v8, v7, v6, v8
	v_mul_f16_sdwa v6, v7, v6 dst_sel:DWORD dst_unused:UNUSED_PAD src0_sel:WORD_1 src1_sel:DWORD
	v_fma_f16 v1, v7, v1, -v6
	v_pack_b32_f16 v1, v8, v1
	ds_write2_b32 v5, v0, v1 offset0:111 offset1:136
	s_waitcnt vmcnt(1)
	v_lshrrev_b32_e32 v0, 16, v2
	s_waitcnt vmcnt(0)
	v_mul_f16_sdwa v1, v3, v0 dst_sel:DWORD dst_unused:UNUSED_PAD src0_sel:WORD_1 src1_sel:DWORD
	v_fma_f16 v1, v3, v2, v1
	v_mul_f16_sdwa v2, v3, v2 dst_sel:DWORD dst_unused:UNUSED_PAD src0_sel:WORD_1 src1_sel:DWORD
	v_fma_f16 v0, v3, v0, -v2
	v_pack_b32_f16 v0, v1, v0
	ds_write_b32 v72, v0 offset:1668
.LBB0_3:
	s_or_b64 exec, exec, s[2:3]
	s_waitcnt lgkmcnt(0)
	; wave barrier
	s_waitcnt lgkmcnt(0)
	ds_read2_b32 v[16:17], v72 offset1:25
	ds_read2_b32 v[20:21], v72 offset0:50 offset1:75
	ds_read2_b32 v[24:25], v72 offset0:100 offset1:125
	ds_read2_b32 v[30:31], v72 offset0:150 offset1:175
	ds_read2_b32 v[18:19], v72 offset0:200 offset1:225
	ds_read2_b32 v[28:29], v4 offset0:122 offset1:147
	ds_read2_b32 v[26:27], v5 offset0:44 offset1:69
	ds_read2_b32 v[22:23], v5 offset0:94 offset1:119
	ds_read_b32 v100, v72 offset:1600
	s_load_dwordx2 s[2:3], s[4:5], 0x8
	v_mov_b32_e32 v0, 0
                                        ; implicit-def: $vgpr83
                                        ; implicit-def: $vgpr6
                                        ; implicit-def: $vgpr5
                                        ; implicit-def: $vgpr12
                                        ; implicit-def: $vgpr9
                                        ; implicit-def: $vgpr14
                                        ; implicit-def: $vgpr11
                                        ; implicit-def: $vgpr76
	s_and_saveexec_b64 s[0:1], vcc
	s_cbranch_execz .LBB0_5
; %bb.4:
	ds_read2_b32 v[0:1], v72 offset0:17 offset1:42
	ds_read2_b32 v[10:11], v72 offset0:67 offset1:92
	;; [unrolled: 1-line block ×5, first 2 shown]
	v_add_u32_e32 v14, 0x400, v72
	ds_read2_b32 v[6:7], v14 offset0:11 offset1:36
	ds_read2_b32 v[12:13], v14 offset0:61 offset1:86
	;; [unrolled: 1-line block ×3, first 2 shown]
	ds_read_b32 v76, v72 offset:1668
.LBB0_5:
	s_or_b64 exec, exec, s[0:1]
	s_waitcnt lgkmcnt(0)
	v_pk_add_f16 v93, v1, v76 neg_lo:[0,1] neg_hi:[0,1]
	s_mov_b32 s25, 0xb964
	v_pk_add_f16 v56, v76, v1
	s_movk_i32 s0, 0x39e9
	v_mul_f16_sdwa v33, v93, s25 dst_sel:DWORD dst_unused:UNUSED_PAD src0_sel:WORD_1 src1_sel:DWORD
	s_mov_b32 s23, 0xbb29
	s_mov_b32 s22, 0xbbf7
	v_pk_add_f16 v94, v10, v15 neg_lo:[0,1] neg_hi:[0,1]
	v_fma_f16 v39, v56, s0, v33
	s_movk_i32 s1, 0x3722
	v_mul_f16_sdwa v34, v93, s23 dst_sel:DWORD dst_unused:UNUSED_PAD src0_sel:WORD_1 src1_sel:DWORD
	s_movk_i32 s4, 0x2de8
	s_mov_b32 s20, 0xba62
	v_pk_add_f16 v61, v15, v10
	v_mul_f16_sdwa v121, v94, s22 dst_sel:DWORD dst_unused:UNUSED_PAD src0_sel:WORD_1 src1_sel:DWORD
	v_pk_add_f16 v95, v11, v14 neg_lo:[0,1] neg_hi:[0,1]
	v_fma_f16 v40, v56, s1, v34
	s_mov_b32 s12, 0xb8d2
	s_mov_b32 s18, 0xb1e1
	v_fma_f16 v43, v61, s4, v121
	v_mul_f16_sdwa v47, v94, s20 dst_sel:DWORD dst_unused:UNUSED_PAD src0_sel:WORD_1 src1_sel:DWORD
	v_pk_add_f16 v64, v14, v11
	v_mul_f16_sdwa v45, v95, s20 dst_sel:DWORD dst_unused:UNUSED_PAD src0_sel:WORD_1 src1_sel:DWORD
	s_movk_i32 s33, 0x31e1
	v_pk_add_f16 v96, v8, v13 neg_lo:[0,1] neg_hi:[0,1]
	v_add_f16_e32 v39, v39, v0
	s_mov_b32 s16, 0xbbdd
	v_fma_f16 v44, v61, s12, v47
	s_movk_i32 s31, 0x3836
	s_movk_i32 s30, 0x3bb2
	v_fma_f16 v60, v64, s12, v45
	v_mul_f16_sdwa v49, v95, s33 dst_sel:DWORD dst_unused:UNUSED_PAD src0_sel:WORD_1 src1_sel:DWORD
	v_pk_add_f16 v65, v13, v8
	v_mul_f16_sdwa v48, v96, s18 dst_sel:DWORD dst_unused:UNUSED_PAD src0_sel:WORD_1 src1_sel:DWORD
	v_pk_add_f16 v97, v9, v12 neg_lo:[0,1] neg_hi:[0,1]
	v_add_f16_e32 v39, v43, v39
	v_add_f16_e32 v40, v40, v0
	s_mov_b32 s5, 0xb461
	s_mov_b32 s13, 0xbacd
	v_fma_f16 v62, v64, s16, v49
	s_movk_i32 s29, 0x3964
	v_fma_f16 v63, v65, s16, v48
	v_mul_f16_sdwa v130, v96, s30 dst_sel:DWORD dst_unused:UNUSED_PAD src0_sel:WORD_1 src1_sel:DWORD
	v_pk_add_f16 v66, v12, v9
	v_mul_f16_sdwa v129, v97, s31 dst_sel:DWORD dst_unused:UNUSED_PAD src0_sel:WORD_1 src1_sel:DWORD
	v_pk_add_f16 v98, v4, v7 neg_lo:[0,1] neg_hi:[0,1]
	v_add_f16_e32 v40, v44, v40
	v_add_f16_e32 v39, v60, v39
	s_mov_b32 s24, 0xb5c8
	s_movk_i32 s26, 0x3b29
	v_fma_f16 v67, v65, s5, v130
	v_fma_f16 v69, v66, s13, v129
	v_mul_f16_sdwa v59, v97, s29 dst_sel:DWORD dst_unused:UNUSED_PAD src0_sel:WORD_1 src1_sel:DWORD
	v_pk_add_f16 v68, v7, v4
	v_mul_f16_sdwa v81, v98, s30 dst_sel:DWORD dst_unused:UNUSED_PAD src0_sel:WORD_1 src1_sel:DWORD
	v_pk_add_f16 v99, v5, v6 neg_lo:[0,1] neg_hi:[0,1]
	v_add_f16_e32 v40, v62, v40
	v_add_f16_e32 v39, v63, v39
	s_movk_i32 s17, 0x3b76
	s_movk_i32 s27, 0x35c8
	v_fma_f16 v92, v66, s0, v59
	v_fma_f16 v101, v68, s5, v81
	v_mul_f16_sdwa v122, v98, s24 dst_sel:DWORD dst_unused:UNUSED_PAD src0_sel:WORD_1 src1_sel:DWORD
	v_pk_add_f16 v104, v6, v5
	v_mul_f16_sdwa v123, v99, s26 dst_sel:DWORD dst_unused:UNUSED_PAD src0_sel:WORD_1 src1_sel:DWORD
	v_add_f16_e32 v40, v67, v40
	v_add_f16_e32 v39, v69, v39
	v_pk_add_f16 v102, v82, v83 neg_lo:[0,1] neg_hi:[0,1]
	v_mul_f16_sdwa v46, v93, s22 dst_sel:DWORD dst_unused:UNUSED_PAD src0_sel:WORD_1 src1_sel:DWORD
	s_mov_b32 s21, 0xbbb2
	s_mov_b32 s19, 0xb836
	v_fma_f16 v103, v68, s17, v122
	v_fma_f16 v43, v104, s1, v123
	v_mul_f16_sdwa v124, v99, s22 dst_sel:DWORD dst_unused:UNUSED_PAD src0_sel:WORD_1 src1_sel:DWORD
	v_pk_add_f16 v109, v83, v82
	v_add_f16_e32 v40, v92, v40
	v_add_f16_e32 v39, v101, v39
	v_mul_f16_sdwa v63, v102, s27 dst_sel:DWORD dst_unused:UNUSED_PAD src0_sel:WORD_1 src1_sel:DWORD
	v_fma_f16 v41, v56, s4, v46
	v_mul_f16_sdwa v50, v93, s21 dst_sel:DWORD dst_unused:UNUSED_PAD src0_sel:WORD_1 src1_sel:DWORD
	v_mul_f16_sdwa v51, v94, s18 dst_sel:DWORD dst_unused:UNUSED_PAD src0_sel:WORD_1 src1_sel:DWORD
	v_fma_f16 v44, v104, s4, v124
	v_add_f16_e32 v40, v103, v40
	v_fma_f16 v69, v109, s17, v63
	v_add_f16_e32 v39, v43, v39
	v_mul_f16_sdwa v67, v102, s19 dst_sel:DWORD dst_unused:UNUSED_PAD src0_sel:WORD_1 src1_sel:DWORD
	v_fma_f16 v42, v56, s5, v50
	v_fma_f16 v70, v61, s16, v51
	v_mul_f16_sdwa v57, v94, s31 dst_sel:DWORD dst_unused:UNUSED_PAD src0_sel:WORD_1 src1_sel:DWORD
	v_add_f16_e32 v43, v44, v40
	v_fma_f16 v44, v109, s13, v67
	v_add_f16_e32 v40, v69, v39
	v_mul_f16_sdwa v69, v95, s30 dst_sel:DWORD dst_unused:UNUSED_PAD src0_sel:WORD_1 src1_sel:DWORD
	v_add_f16_e32 v41, v41, v0
	v_fma_f16 v91, v61, s13, v57
	v_add_f16_e32 v39, v44, v43
	v_fma_f16 v43, v64, s5, v69
	v_add_f16_e32 v41, v70, v41
	v_mul_f16_sdwa v108, v95, s29 dst_sel:DWORD dst_unused:UNUSED_PAD src0_sel:WORD_1 src1_sel:DWORD
	v_add_f16_e32 v42, v42, v0
	v_mul_f16_sdwa v70, v96, s27 dst_sel:DWORD dst_unused:UNUSED_PAD src0_sel:WORD_1 src1_sel:DWORD
	v_add_f16_e32 v42, v91, v42
	v_fma_f16 v44, v64, s0, v108
	v_add_f16_e32 v41, v43, v41
	v_fma_f16 v43, v65, s17, v70
	v_mul_f16_sdwa v110, v96, s23 dst_sel:DWORD dst_unused:UNUSED_PAD src0_sel:WORD_1 src1_sel:DWORD
	v_add_f16_e32 v42, v44, v42
	v_add_f16_e32 v41, v43, v41
	v_fma_f16 v43, v65, s1, v110
	v_mul_f16_sdwa v91, v97, s23 dst_sel:DWORD dst_unused:UNUSED_PAD src0_sel:WORD_1 src1_sel:DWORD
	v_add_f16_e32 v42, v43, v42
	v_fma_f16 v43, v66, s1, v91
	v_mul_f16_sdwa v111, v97, s18 dst_sel:DWORD dst_unused:UNUSED_PAD src0_sel:WORD_1 src1_sel:DWORD
	;; [unrolled: 3-line block ×3, first 2 shown]
	s_movk_i32 s34, 0x3bf7
	v_add_f16_e32 v42, v43, v42
	v_fma_f16 v43, v68, s13, v105
	v_mul_f16_sdwa v112, v98, s34 dst_sel:DWORD dst_unused:UNUSED_PAD src0_sel:WORD_1 src1_sel:DWORD
	s_movk_i32 s35, 0x3a62
	v_add_f16_e32 v41, v43, v41
	v_fma_f16 v43, v68, s4, v112
	v_mul_f16_sdwa v106, v99, s35 dst_sel:DWORD dst_unused:UNUSED_PAD src0_sel:WORD_1 src1_sel:DWORD
	v_add_f16_e32 v42, v43, v42
	v_fma_f16 v43, v104, s12, v106
	v_mul_f16_sdwa v113, v99, s24 dst_sel:DWORD dst_unused:UNUSED_PAD src0_sel:WORD_1 src1_sel:DWORD
	s_waitcnt lgkmcnt(0)
	; wave barrier
	buffer_load_dword v52, off, s[40:43], 0 ; 4-byte Folded Reload
	v_add_f16_e32 v41, v43, v41
	v_fma_f16 v43, v104, s17, v113
	v_mul_f16_sdwa v107, v102, s29 dst_sel:DWORD dst_unused:UNUSED_PAD src0_sel:WORD_1 src1_sel:DWORD
	v_add_f16_e32 v43, v43, v42
	v_fma_f16 v42, v109, s0, v107
	v_mul_f16_sdwa v114, v102, s20 dst_sel:DWORD dst_unused:UNUSED_PAD src0_sel:WORD_1 src1_sel:DWORD
	;; [unrolled: 3-line block ×18, first 2 shown]
	v_add_f16_e32 v44, v44, v43
	v_fma_f16 v43, v109, s5, v80
	v_add_f16_e32 v43, v43, v92
	v_pk_add_f16 v92, v16, v17
	v_pk_add_f16 v92, v92, v20
	;; [unrolled: 1-line block ×8, first 2 shown]
	v_pk_add_f16 v146, v30, v29 neg_lo:[0,1] neg_hi:[0,1]
	v_pk_add_f16 v30, v28, v31
	v_pk_add_f16 v155, v31, v28 neg_lo:[0,1] neg_hi:[0,1]
	v_pk_add_f16 v31, v92, v18
	v_pk_add_f16 v31, v31, v19
	;; [unrolled: 1-line block ×5, first 2 shown]
	v_pk_add_f16 v158, v24, v27 neg_lo:[0,1] neg_hi:[0,1]
	v_pk_add_f16 v24, v26, v25
	v_pk_add_f16 v157, v25, v26 neg_lo:[0,1] neg_hi:[0,1]
	v_pk_add_f16 v25, v29, v26
	;; [unrolled: 2-line block ×3, first 2 shown]
	v_pk_add_f16 v164, v100, v17
	v_mul_f16_sdwa v166, v165, s24 dst_sel:DWORD dst_unused:UNUSED_PAD src0_sel:WORD_1 src1_sel:DWORD
	v_pk_add_f16 v25, v23, v20
	v_pk_add_f16 v162, v20, v23 neg_lo:[0,1] neg_hi:[0,1]
	v_pk_add_f16 v20, v22, v21
	v_pk_add_f16 v161, v21, v22 neg_lo:[0,1] neg_hi:[0,1]
	v_pk_add_f16 v21, v26, v22
	v_fma_f16 v17, v164, s17, -v166
	v_pk_add_f16 v163, v21, v23
	v_add_f16_e32 v21, v16, v17
	v_mul_f16_sdwa v17, v162, s25 dst_sel:DWORD dst_unused:UNUSED_PAD src0_sel:WORD_1 src1_sel:DWORD
	v_fma_f16 v22, v25, s0, -v17
	s_mov_b32 s36, 0x3b7639e9
	v_add_f16_e32 v22, v22, v21
	s_mov_b32 s37, 0xb964b5c8
	v_pk_mul_f16 v21, v164, s36
	s_mov_b32 s28, 0xffff
	v_pk_fma_f16 v167, v165, s37, v21 op_sel:[0,0,1] op_sel_hi:[1,1,0] neg_lo:[1,0,0] neg_hi:[1,0,0]
	v_pk_fma_f16 v168, v165, s37, v21 op_sel:[0,0,1] op_sel_hi:[1,1,0]
	s_mov_b32 s36, 0x39e92de8
	v_bfi_b32 v21, s28, v168, v167
	s_mov_b32 s37, 0xbbf7b964
	v_pk_mul_f16 v26, v25, s36
	v_pk_add_f16 v23, v16, v21 op_sel:[1,0] op_sel_hi:[0,1]
	v_pk_fma_f16 v21, v162, s37, v26 op_sel:[0,0,1] op_sel_hi:[1,1,0] neg_lo:[1,0,0] neg_hi:[1,0,0]
	v_pk_fma_f16 v101, v162, s37, v26 op_sel:[0,0,1] op_sel_hi:[1,1,0]
	v_bfi_b32 v26, s28, v101, v21
	v_lshrrev_b32_e32 v169, 16, v164
	v_mul_f16_e32 v170, 0xb964, v165
	v_pk_add_f16 v26, v26, v23
	v_fma_f16 v23, v169, s0, v170
	v_lshrrev_b32_e32 v103, 16, v25
	v_mul_f16_e32 v137, 0xbbf7, v162
	v_add_f16_sdwa v23, v16, v23 dst_sel:DWORD dst_unused:UNUSED_PAD src0_sel:WORD_1 src1_sel:DWORD
	v_fma_f16 v27, v103, s4, v137
	v_add_f16_e32 v27, v27, v23
	v_mul_f16_sdwa v23, v161, s23 dst_sel:DWORD dst_unused:UNUSED_PAD src0_sel:WORD_1 src1_sel:DWORD
	s_mov_b32 s36, 0x3722b8d2
	v_fma_f16 v29, v20, s1, -v23
	s_mov_b32 s37, 0xba62bb29
	v_pk_mul_f16 v31, v20, s36
	v_add_f16_e32 v29, v29, v22
	v_pk_fma_f16 v22, v161, s37, v31 op_sel:[0,0,1] op_sel_hi:[1,1,0] neg_lo:[1,0,0] neg_hi:[1,0,0]
	v_pk_fma_f16 v139, v161, s37, v31 op_sel:[0,0,1] op_sel_hi:[1,1,0]
	v_bfi_b32 v31, s28, v139, v22
	v_lshrrev_b32_e32 v138, 16, v20
	v_mul_f16_e32 v140, 0xba62, v161
	v_pk_add_f16 v31, v31, v26
	v_fma_f16 v26, v138, s12, v140
	v_add_f16_e32 v92, v26, v27
	v_mul_f16_sdwa v27, v158, s22 dst_sel:DWORD dst_unused:UNUSED_PAD src0_sel:WORD_1 src1_sel:DWORD
	s_mov_b32 s36, 0x2de8bbdd
	v_fma_f16 v26, v28, s4, -v27
	s_mov_b32 s37, 0xb1e1bbf7
	v_pk_mul_f16 v132, v28, s36
	v_add_f16_e32 v29, v26, v29
	v_pk_fma_f16 v26, v158, s37, v132 op_sel:[0,0,1] op_sel_hi:[1,1,0] neg_lo:[1,0,0] neg_hi:[1,0,0]
	v_pk_fma_f16 v142, v158, s37, v132 op_sel:[0,0,1] op_sel_hi:[1,1,0]
	v_bfi_b32 v132, s28, v142, v26
	v_lshrrev_b32_e32 v141, 16, v28
	v_mul_f16_e32 v143, 0xb1e1, v158
	v_pk_add_f16 v132, v132, v31
	v_fma_f16 v31, v141, s16, v143
	v_add_f16_e32 v92, v31, v92
	v_mul_f16_sdwa v31, v157, s21 dst_sel:DWORD dst_unused:UNUSED_PAD src0_sel:WORD_1 src1_sel:DWORD
	v_fma_f16 v133, v24, s5, -v31
	s_mov_b32 s36, 0xb461bacd
	v_add_f16_e32 v134, v133, v29
	s_mov_b32 s37, 0x3836bbb2
	v_pk_mul_f16 v133, v24, s36
	v_pk_fma_f16 v29, v157, s37, v133 op_sel:[0,0,1] op_sel_hi:[1,1,0] neg_lo:[1,0,0] neg_hi:[1,0,0]
	v_pk_fma_f16 v145, v157, s37, v133 op_sel:[0,0,1] op_sel_hi:[1,1,0]
	v_bfi_b32 v133, s28, v145, v29
	v_lshrrev_b32_e32 v144, 16, v24
	v_mul_f16_e32 v148, 0x3836, v157
	v_pk_add_f16 v135, v133, v132
	v_fma_f16 v132, v144, s13, v148
	v_mul_f16_sdwa v133, v146, s20 dst_sel:DWORD dst_unused:UNUSED_PAD src0_sel:WORD_1 src1_sel:DWORD
	v_add_f16_e32 v92, v132, v92
	v_fma_f16 v132, v131, s12, -v133
	s_mov_b32 s36, 0xb8d2b461
	v_add_f16_e32 v136, v132, v134
	s_mov_b32 s37, 0x3bb2ba62
	v_pk_mul_f16 v134, v131, s36
	v_pk_fma_f16 v132, v146, s37, v134 op_sel:[0,0,1] op_sel_hi:[1,1,0] neg_lo:[1,0,0] neg_hi:[1,0,0]
	v_pk_fma_f16 v150, v146, s37, v134 op_sel:[0,0,1] op_sel_hi:[1,1,0]
	v_bfi_b32 v134, s28, v150, v132
	v_lshrrev_b32_e32 v149, 16, v131
	v_mul_f16_e32 v151, 0x3bb2, v146
	v_pk_add_f16 v152, v134, v135
	v_fma_f16 v134, v149, s5, v151
	v_add_f16_e32 v92, v134, v92
	v_mul_f16_sdwa v134, v155, s19 dst_sel:DWORD dst_unused:UNUSED_PAD src0_sel:WORD_1 src1_sel:DWORD
	v_fma_f16 v135, v30, s13, -v134
	s_mov_b32 s36, 0xbacd3722
	v_add_f16_e32 v156, v135, v136
	s_mov_b32 s37, 0x3b29b836
	v_pk_mul_f16 v136, v30, s36
	v_pk_fma_f16 v135, v155, s37, v136 op_sel:[0,0,1] op_sel_hi:[1,1,0] neg_lo:[1,0,0] neg_hi:[1,0,0]
	v_pk_fma_f16 v147, v155, s37, v136 op_sel:[0,0,1] op_sel_hi:[1,1,0]
	v_bfi_b32 v136, s28, v147, v135
	v_pk_add_f16 v159, v136, v152
	v_lshrrev_b32_e32 v152, 16, v30
	v_mul_f16_e32 v153, 0x3b29, v155
	v_fma_f16 v136, v152, s1, v153
	v_pk_add_f16 v154, v18, v19 neg_lo:[0,1] neg_hi:[0,1]
	v_add_f16_e32 v92, v136, v92
	v_pk_add_f16 v136, v19, v18
	v_mul_f16_sdwa v18, v154, s18 dst_sel:DWORD dst_unused:UNUSED_PAD src0_sel:WORD_1 src1_sel:DWORD
	v_fma_f16 v19, v136, s16, -v18
	s_mov_b32 s37, 0xbbdd3b76
	v_add_f16_e32 v171, v19, v156
	s_mov_b32 s36, 0x35c8b1e1
	v_pk_mul_f16 v156, v136, s37
	v_pk_fma_f16 v19, v154, s36, v156 op_sel:[0,0,1] op_sel_hi:[1,1,0] neg_lo:[1,0,0] neg_hi:[1,0,0]
	v_pk_fma_f16 v160, v154, s36, v156 op_sel:[0,0,1] op_sel_hi:[1,1,0]
	v_bfi_b32 v160, s28, v160, v19
	v_pk_add_f16 v172, v160, v159
	v_lshrrev_b32_e32 v159, 16, v136
	v_mul_f16_e32 v160, 0x35c8, v154
	v_fma_f16 v173, v159, s17, v160
	v_add_f16_e32 v92, v173, v92
	v_alignbit_b32 v173, v92, v172, 16
	v_mul_lo_u16_e32 v92, 17, v71
	v_pack_b32_f16 v171, v171, v172
	s_waitcnt vmcnt(0)
	v_lshl_add_u32 v92, v92, 2, v52
	ds_write2_b32 v92, v171, v173 offset0:1 offset1:2
	v_mul_f16_sdwa v171, v165, s23 dst_sel:DWORD dst_unused:UNUSED_PAD src0_sel:WORD_1 src1_sel:DWORD
	v_fma_f16 v172, v164, s1, -v171
	v_mul_f16_sdwa v173, v162, s20 dst_sel:DWORD dst_unused:UNUSED_PAD src0_sel:WORD_1 src1_sel:DWORD
	v_add_f16_e32 v172, v16, v172
	v_fma_f16 v174, v25, s12, -v173
	v_add_f16_e32 v172, v174, v172
	v_mul_f16_e32 v174, 0xbb29, v165
	v_fma_f16 v175, v169, s1, v174
	v_mul_f16_e32 v176, 0xba62, v162
	v_add_f16_sdwa v175, v16, v175 dst_sel:DWORD dst_unused:UNUSED_PAD src0_sel:WORD_1 src1_sel:DWORD
	v_fma_f16 v177, v103, s12, v176
	v_add_f16_e32 v175, v177, v175
	v_mul_f16_sdwa v177, v165, s22 dst_sel:DWORD dst_unused:UNUSED_PAD src0_sel:WORD_1 src1_sel:DWORD
	v_fma_f16 v178, v164, s4, -v177
	v_mul_f16_sdwa v179, v162, s18 dst_sel:DWORD dst_unused:UNUSED_PAD src0_sel:WORD_1 src1_sel:DWORD
	v_add_f16_e32 v178, v16, v178
	v_fma_f16 v180, v25, s16, -v179
	v_add_f16_e32 v178, v180, v178
	v_mul_f16_e32 v180, 0xbbf7, v165
	v_fma_f16 v181, v169, s4, v180
	v_mul_f16_e32 v182, 0xb1e1, v162
	v_add_f16_sdwa v181, v16, v181 dst_sel:DWORD dst_unused:UNUSED_PAD src0_sel:WORD_1 src1_sel:DWORD
	v_fma_f16 v183, v103, s16, v182
	v_add_f16_e32 v181, v183, v181
	v_mul_f16_sdwa v183, v161, s33 dst_sel:DWORD dst_unused:UNUSED_PAD src0_sel:WORD_1 src1_sel:DWORD
	v_fma_f16 v184, v20, s16, -v183
	v_add_f16_e32 v172, v184, v172
	v_mul_f16_e32 v184, 0x31e1, v161
	v_fma_f16 v185, v138, s16, v184
	v_add_f16_e32 v175, v185, v175
	v_mul_f16_sdwa v185, v161, s30 dst_sel:DWORD dst_unused:UNUSED_PAD src0_sel:WORD_1 src1_sel:DWORD
	v_fma_f16 v186, v20, s5, -v185
	v_add_f16_e32 v178, v186, v178
	v_mul_f16_e32 v186, 0x3bb2, v161
	v_fma_f16 v187, v138, s5, v186
	v_add_f16_e32 v181, v187, v181
	v_mul_f16_sdwa v187, v158, s30 dst_sel:DWORD dst_unused:UNUSED_PAD src0_sel:WORD_1 src1_sel:DWORD
	v_fma_f16 v188, v28, s5, -v187
	v_add_f16_e32 v172, v188, v172
	v_mul_f16_e32 v188, 0x3bb2, v158
	v_fma_f16 v189, v141, s5, v188
	v_add_f16_e32 v175, v189, v175
	v_mul_f16_sdwa v189, v158, s27 dst_sel:DWORD dst_unused:UNUSED_PAD src0_sel:WORD_1 src1_sel:DWORD
	v_fma_f16 v190, v28, s17, -v189
	v_add_f16_e32 v178, v190, v178
	v_mul_f16_e32 v190, 0x35c8, v158
	v_fma_f16 v191, v141, s17, v190
	v_add_f16_e32 v181, v191, v181
	v_mul_f16_sdwa v191, v157, s29 dst_sel:DWORD dst_unused:UNUSED_PAD src0_sel:WORD_1 src1_sel:DWORD
	v_fma_f16 v192, v24, s0, -v191
	v_add_f16_e32 v172, v192, v172
	v_mul_f16_e32 v192, 0x3964, v157
	v_fma_f16 v193, v144, s0, v192
	v_add_f16_e32 v175, v193, v175
	v_mul_f16_sdwa v193, v157, s23 dst_sel:DWORD dst_unused:UNUSED_PAD src0_sel:WORD_1 src1_sel:DWORD
	v_fma_f16 v194, v24, s1, -v193
	v_add_f16_e32 v178, v194, v178
	v_mul_f16_e32 v194, 0xbb29, v157
	v_fma_f16 v195, v144, s1, v194
	v_add_f16_e32 v181, v195, v181
	v_mul_f16_sdwa v195, v146, s24 dst_sel:DWORD dst_unused:UNUSED_PAD src0_sel:WORD_1 src1_sel:DWORD
	v_fma_f16 v196, v131, s17, -v195
	v_add_f16_e32 v172, v196, v172
	v_mul_f16_e32 v196, 0xb5c8, v146
	v_fma_f16 v197, v149, s17, v196
	v_add_f16_e32 v175, v197, v175
	v_mul_f16_sdwa v197, v146, s19 dst_sel:DWORD dst_unused:UNUSED_PAD src0_sel:WORD_1 src1_sel:DWORD
	v_fma_f16 v198, v131, s13, -v197
	v_add_f16_e32 v178, v198, v178
	v_mul_f16_e32 v198, 0xb836, v146
	v_fma_f16 v199, v149, s13, v198
	v_add_f16_e32 v181, v199, v181
	v_mul_f16_sdwa v199, v155, s22 dst_sel:DWORD dst_unused:UNUSED_PAD src0_sel:WORD_1 src1_sel:DWORD
	v_fma_f16 v200, v30, s4, -v199
	v_add_f16_e32 v172, v200, v172
	v_mul_f16_e32 v200, 0xbbf7, v155
	v_fma_f16 v201, v152, s4, v200
	v_add_f16_e32 v175, v201, v175
	v_mul_f16_sdwa v201, v155, s35 dst_sel:DWORD dst_unused:UNUSED_PAD src0_sel:WORD_1 src1_sel:DWORD
	v_fma_f16 v202, v30, s12, -v201
	v_add_f16_e32 v178, v202, v178
	v_mul_f16_e32 v202, 0x3a62, v155
	v_fma_f16 v203, v152, s12, v202
	v_add_f16_e32 v181, v203, v181
	v_mul_f16_sdwa v203, v154, s19 dst_sel:DWORD dst_unused:UNUSED_PAD src0_sel:WORD_1 src1_sel:DWORD
	v_fma_f16 v204, v136, s13, -v203
	v_add_f16_e32 v172, v204, v172
	v_mul_f16_e32 v204, 0xbacd, v159
	v_fma_f16 v205, v154, s19, v204
	v_add_f16_e32 v175, v205, v175
	v_mul_f16_sdwa v205, v154, s29 dst_sel:DWORD dst_unused:UNUSED_PAD src0_sel:WORD_1 src1_sel:DWORD
	v_fma_f16 v206, v136, s0, -v205
	v_add_f16_e32 v178, v206, v178
	v_mul_f16_e32 v206, 0x3964, v154
	v_fma_f16 v207, v159, s0, v206
	v_add_f16_e32 v181, v207, v181
	v_pack_b32_f16 v178, v178, v181
	v_pack_b32_f16 v172, v172, v175
	ds_write2_b32 v92, v172, v178 offset0:3 offset1:4
	v_mul_f16_sdwa v172, v165, s21 dst_sel:DWORD dst_unused:UNUSED_PAD src0_sel:WORD_1 src1_sel:DWORD
	v_fma_f16 v175, v164, s5, -v172
	v_mul_f16_sdwa v178, v162, s31 dst_sel:DWORD dst_unused:UNUSED_PAD src0_sel:WORD_1 src1_sel:DWORD
	v_add_f16_e32 v175, v16, v175
	v_fma_f16 v181, v25, s13, -v178
	v_add_f16_e32 v175, v181, v175
	v_mul_f16_e32 v181, 0xbbb2, v165
	v_fma_f16 v207, v169, s5, v181
	v_mul_f16_e32 v208, 0x3836, v162
	v_add_f16_sdwa v207, v16, v207 dst_sel:DWORD dst_unused:UNUSED_PAD src0_sel:WORD_1 src1_sel:DWORD
	v_fma_f16 v209, v103, s13, v208
	v_add_f16_e32 v207, v209, v207
	v_mul_f16_sdwa v209, v165, s20 dst_sel:DWORD dst_unused:UNUSED_PAD src0_sel:WORD_1 src1_sel:DWORD
	v_fma_f16 v210, v164, s12, -v209
	v_mul_f16_sdwa v211, v162, s30 dst_sel:DWORD dst_unused:UNUSED_PAD src0_sel:WORD_1 src1_sel:DWORD
	v_add_f16_e32 v210, v16, v210
	v_fma_f16 v212, v25, s5, -v211
	v_add_f16_e32 v210, v212, v210
	v_mul_f16_e32 v212, 0xba62, v165
	v_fma_f16 v213, v169, s12, v212
	v_mul_f16_e32 v214, 0x3bb2, v162
	v_add_f16_sdwa v213, v16, v213 dst_sel:DWORD dst_unused:UNUSED_PAD src0_sel:WORD_1 src1_sel:DWORD
	v_fma_f16 v215, v103, s5, v214
	v_add_f16_e32 v213, v215, v213
	v_mul_f16_sdwa v215, v161, s29 dst_sel:DWORD dst_unused:UNUSED_PAD src0_sel:WORD_1 src1_sel:DWORD
	v_fma_f16 v216, v20, s0, -v215
	v_add_f16_e32 v175, v216, v175
	v_mul_f16_e32 v216, 0x3964, v161
	v_fma_f16 v217, v138, s0, v216
	v_add_f16_e32 v207, v217, v207
	v_mul_f16_sdwa v217, v161, s24 dst_sel:DWORD dst_unused:UNUSED_PAD src0_sel:WORD_1 src1_sel:DWORD
	v_fma_f16 v218, v20, s17, -v217
	v_add_f16_e32 v210, v218, v210
	v_mul_f16_e32 v218, 0xb5c8, v161
	v_fma_f16 v219, v138, s17, v218
	v_add_f16_e32 v213, v219, v213
	v_mul_f16_sdwa v219, v158, s23 dst_sel:DWORD dst_unused:UNUSED_PAD src0_sel:WORD_1 src1_sel:DWORD
	v_fma_f16 v220, v28, s1, -v219
	v_add_f16_e32 v175, v220, v175
	v_mul_f16_e32 v220, 0xbb29, v158
	v_fma_f16 v221, v141, s1, v220
	v_add_f16_e32 v207, v221, v207
	v_mul_f16_sdwa v221, v158, s19 dst_sel:DWORD dst_unused:UNUSED_PAD src0_sel:WORD_1 src1_sel:DWORD
	v_fma_f16 v222, v28, s13, -v221
	v_add_f16_e32 v210, v222, v210
	v_mul_f16_e32 v222, 0xb836, v158
	v_fma_f16 v223, v141, s13, v222
	v_add_f16_e32 v213, v223, v213
	v_mul_f16_sdwa v223, v157, s18 dst_sel:DWORD dst_unused:UNUSED_PAD src0_sel:WORD_1 src1_sel:DWORD
	v_fma_f16 v224, v24, s16, -v223
	v_add_f16_e32 v175, v224, v175
	v_mul_f16_e32 v224, 0xb1e1, v157
	v_fma_f16 v225, v144, s16, v224
	v_add_f16_e32 v207, v225, v207
	v_mul_f16_sdwa v225, v157, s34 dst_sel:DWORD dst_unused:UNUSED_PAD src0_sel:WORD_1 src1_sel:DWORD
	v_fma_f16 v226, v24, s4, -v225
	v_add_f16_e32 v210, v226, v210
	v_mul_f16_e32 v226, 0x3bf7, v157
	v_fma_f16 v227, v144, s4, v226
	v_add_f16_e32 v213, v227, v213
	v_mul_f16_sdwa v227, v146, s34 dst_sel:DWORD dst_unused:UNUSED_PAD src0_sel:WORD_1 src1_sel:DWORD
	v_fma_f16 v228, v131, s4, -v227
	v_add_f16_e32 v175, v228, v175
	v_mul_f16_e32 v228, 0x3bf7, v146
	v_fma_f16 v229, v149, s4, v228
	v_add_f16_e32 v207, v229, v207
	v_mul_f16_sdwa v229, v146, s25 dst_sel:DWORD dst_unused:UNUSED_PAD src0_sel:WORD_1 src1_sel:DWORD
	v_fma_f16 v230, v131, s0, -v229
	v_add_f16_e32 v210, v230, v210
	v_mul_f16_e32 v230, 0xb964, v146
	v_fma_f16 v231, v149, s0, v230
	v_add_f16_e32 v213, v231, v213
	v_mul_f16_sdwa v231, v155, s24 dst_sel:DWORD dst_unused:UNUSED_PAD src0_sel:WORD_1 src1_sel:DWORD
	v_fma_f16 v232, v30, s17, -v231
	v_add_f16_e32 v175, v232, v175
	v_mul_f16_e32 v232, 0xb5c8, v155
	v_fma_f16 v233, v152, s17, v232
	v_add_f16_e32 v207, v233, v207
	v_mul_f16_sdwa v233, v155, s18 dst_sel:DWORD dst_unused:UNUSED_PAD src0_sel:WORD_1 src1_sel:DWORD
	v_fma_f16 v234, v30, s16, -v233
	v_add_f16_e32 v210, v234, v210
	v_mul_f16_e32 v234, 0xb1e1, v155
	v_fma_f16 v235, v152, s16, v234
	v_add_f16_e32 v213, v235, v213
	v_mul_f16_sdwa v235, v154, s20 dst_sel:DWORD dst_unused:UNUSED_PAD src0_sel:WORD_1 src1_sel:DWORD
	v_fma_f16 v236, v136, s12, -v235
	v_add_f16_e32 v175, v236, v175
	v_mul_f16_e32 v236, 0xba62, v154
	v_fma_f16 v237, v159, s12, v236
	v_add_f16_e32 v207, v237, v207
	v_mul_f16_sdwa v237, v154, s26 dst_sel:DWORD dst_unused:UNUSED_PAD src0_sel:WORD_1 src1_sel:DWORD
	v_fma_f16 v238, v136, s1, -v237
	v_add_f16_e32 v210, v238, v210
	v_mul_f16_e32 v238, 0x3b29, v154
	v_fma_f16 v239, v159, s1, v238
	v_add_f16_e32 v213, v239, v213
	v_pack_b32_f16 v210, v210, v213
	v_pack_b32_f16 v175, v175, v207
	v_pk_add_f16 v100, v163, v100
	v_mul_f16_sdwa v163, v165, s19 dst_sel:DWORD dst_unused:UNUSED_PAD src0_sel:WORD_1 src1_sel:DWORD
	ds_write2_b32 v92, v175, v210 offset0:5 offset1:6
	v_fma_f16 v175, v164, s13, -v163
	v_mul_f16_sdwa v207, v162, s26 dst_sel:DWORD dst_unused:UNUSED_PAD src0_sel:WORD_1 src1_sel:DWORD
	v_add_f16_e32 v175, v16, v175
	v_fma_f16 v210, v25, s1, -v207
	v_add_f16_e32 v175, v210, v175
	v_mul_f16_e32 v210, 0xb836, v165
	v_fma_f16 v213, v169, s13, v210
	v_mul_f16_e32 v239, 0x3b29, v162
	v_add_f16_sdwa v213, v16, v213 dst_sel:DWORD dst_unused:UNUSED_PAD src0_sel:WORD_1 src1_sel:DWORD
	v_fma_f16 v240, v103, s1, v239
	v_add_f16_e32 v213, v240, v213
	v_mul_f16_sdwa v240, v161, s22 dst_sel:DWORD dst_unused:UNUSED_PAD src0_sel:WORD_1 src1_sel:DWORD
	v_fma_f16 v241, v20, s4, -v240
	v_add_f16_e32 v175, v241, v175
	v_mul_f16_e32 v241, 0xbbf7, v161
	v_fma_f16 v242, v138, s4, v241
	v_add_f16_e32 v213, v242, v213
	v_mul_f16_sdwa v242, v158, s35 dst_sel:DWORD dst_unused:UNUSED_PAD src0_sel:WORD_1 src1_sel:DWORD
	v_fma_f16 v243, v28, s12, -v242
	v_add_f16_e32 v175, v243, v175
	v_mul_f16_e32 v243, 0x3a62, v158
	;; [unrolled: 6-line block ×6, first 2 shown]
	v_fma_f16 v252, v159, s5, v251
	v_add_f16_e32 v213, v252, v213
	v_pack_b32_f16 v175, v175, v213
	ds_write2_b32 v92, v100, v175 offset1:7
	v_fma_f16 v175, v169, s5, -v181
	v_fma_f16 v181, v164, s12, v209
	v_fma_f16 v209, v164, s13, v163
	v_pk_mul_f16 v163, v164, s16 op_sel_hi:[1,0]
	v_fma_f16 v100, v169, s0, -v170
	v_fma_f16 v170, v169, s1, -v174
	;; [unrolled: 1-line block ×5, first 2 shown]
	v_fma_f16 v166, v164, s17, v166
	v_fma_f16 v171, v164, s1, v171
	;; [unrolled: 1-line block ×4, first 2 shown]
	v_pk_fma_f16 v210, v165, s18, v163 op_sel:[0,0,1] op_sel_hi:[1,0,0] neg_lo:[1,0,0] neg_hi:[1,0,0]
	v_pk_fma_f16 v165, v165, s18, v163 op_sel:[0,0,1] op_sel_hi:[1,0,0]
	v_add_f16_e32 v163, v16, v166
	v_pk_add_f16 v166, v16, v168 op_sel:[1,0] op_sel_hi:[0,1]
	v_add_f16_sdwa v100, v16, v100 dst_sel:DWORD dst_unused:UNUSED_PAD src0_sel:WORD_1 src1_sel:DWORD
	v_add_f16_e32 v168, v16, v171
	v_add_f16_sdwa v170, v16, v170 dst_sel:DWORD dst_unused:UNUSED_PAD src0_sel:WORD_1 src1_sel:DWORD
	v_add_f16_e32 v171, v16, v177
	v_add_f16_sdwa v174, v16, v174 dst_sel:DWORD dst_unused:UNUSED_PAD src0_sel:WORD_1 src1_sel:DWORD
	v_add_f16_e32 v172, v16, v172
	v_add_f16_sdwa v175, v16, v175 dst_sel:DWORD dst_unused:UNUSED_PAD src0_sel:WORD_1 src1_sel:DWORD
	v_add_f16_e32 v177, v16, v181
	v_add_f16_sdwa v180, v16, v180 dst_sel:DWORD dst_unused:UNUSED_PAD src0_sel:WORD_1 src1_sel:DWORD
	v_add_f16_e32 v181, v16, v209
	v_add_f16_sdwa v169, v16, v169 dst_sel:DWORD dst_unused:UNUSED_PAD src0_sel:WORD_1 src1_sel:DWORD
	v_add_f16_sdwa v164, v16, v167 dst_sel:DWORD dst_unused:UNUSED_PAD src0_sel:WORD_1 src1_sel:DWORD
	v_pk_add_f16 v167, v16, v210 op_sel:[1,0] op_sel_hi:[0,1]
	v_pk_add_f16 v16, v16, v165 op_sel:[1,0] op_sel_hi:[0,1]
	v_pk_mul_f16 v165, v25, s17 op_sel_hi:[1,0]
	v_pk_fma_f16 v209, v162, s27, v165 op_sel:[0,0,1] op_sel_hi:[1,0,0] neg_lo:[1,0,0] neg_hi:[1,0,0]
	v_pk_fma_f16 v162, v162, s27, v165 op_sel:[0,0,1] op_sel_hi:[1,0,0]
	v_pk_add_f16 v16, v162, v16
	v_pk_mul_f16 v162, v20, s13 op_sel_hi:[1,0]
	v_pk_fma_f16 v165, v161, s19, v162 op_sel:[0,0,1] op_sel_hi:[1,0,0] neg_lo:[1,0,0] neg_hi:[1,0,0]
	v_pk_fma_f16 v161, v161, s19, v162 op_sel:[0,0,1] op_sel_hi:[1,0,0]
	v_pk_add_f16 v16, v161, v16
	;; [unrolled: 4-line block ×4, first 2 shown]
	v_pk_add_f16 v16, v157, v16
	v_pk_mul_f16 v157, v131, s1 op_sel_hi:[1,0]
	v_pk_add_f16 v165, v165, v167
	v_pk_fma_f16 v158, v146, s26, v157 op_sel:[0,0,1] op_sel_hi:[1,0,0] neg_lo:[1,0,0] neg_hi:[1,0,0]
	v_pk_fma_f16 v146, v146, s26, v157 op_sel:[0,0,1] op_sel_hi:[1,0,0]
	v_pk_add_f16 v162, v162, v165
	v_pk_add_f16 v16, v146, v16
	v_pk_mul_f16 v146, v30, s5 op_sel_hi:[1,0]
	v_pk_add_f16 v161, v161, v162
	v_pk_fma_f16 v157, v155, s21, v146 op_sel:[0,0,1] op_sel_hi:[1,0,0] neg_lo:[1,0,0] neg_hi:[1,0,0]
	v_pk_fma_f16 v146, v155, s21, v146 op_sel:[0,0,1] op_sel_hi:[1,0,0]
	v_pk_add_f16 v158, v158, v161
	;; [unrolled: 6-line block ×3, first 2 shown]
	v_pk_add_f16 v16, v146, v16
	v_alignbit_b32 v146, v155, v16, 16
	v_alignbit_b32 v16, v16, v155, 16
	ds_write2_b32 v92, v16, v146 offset0:8 offset1:9
	v_fma_f16 v16, v25, s5, v211
	v_add_f16_e32 v16, v16, v177
	v_fma_f16 v146, v103, s5, -v214
	v_fma_f16 v158, v20, s17, v217
	v_add_f16_e32 v146, v146, v180
	v_fma_f16 v155, v25, s1, v207
	v_add_f16_e32 v16, v158, v16
	v_fma_f16 v158, v138, s17, -v218
	v_add_f16_e32 v155, v155, v181
	v_fma_f16 v157, v103, s1, -v239
	v_add_f16_e32 v146, v158, v146
	v_fma_f16 v158, v20, s4, v240
	v_add_f16_e32 v157, v157, v169
	v_add_f16_e32 v155, v158, v155
	v_fma_f16 v158, v138, s4, -v241
	v_add_f16_e32 v157, v158, v157
	v_fma_f16 v158, v28, s13, v221
	v_add_f16_e32 v16, v158, v16
	v_fma_f16 v158, v141, s13, -v222
	v_add_f16_e32 v146, v158, v146
	v_fma_f16 v158, v28, s12, v242
	;; [unrolled: 4-line block ×10, first 2 shown]
	v_add_f16_e32 v155, v158, v155
	v_fma_f16 v158, v159, s5, -v251
	v_add_f16_e32 v157, v158, v157
	v_pack_b32_f16 v16, v16, v146
	v_pack_b32_f16 v146, v155, v157
	ds_write2_b32 v92, v146, v16 offset0:10 offset1:11
	v_fma_f16 v16, v25, s16, v179
	v_add_f16_e32 v16, v16, v171
	v_fma_f16 v146, v103, s16, -v182
	v_fma_f16 v158, v20, s5, v185
	v_add_f16_e32 v146, v146, v174
	v_fma_f16 v155, v25, s13, v178
	v_add_f16_e32 v16, v158, v16
	v_fma_f16 v158, v138, s5, -v186
	v_add_f16_e32 v155, v155, v172
	v_fma_f16 v157, v103, s13, -v208
	v_add_f16_e32 v146, v158, v146
	v_fma_f16 v158, v20, s0, v215
	v_add_f16_e32 v157, v157, v175
	v_add_f16_e32 v155, v158, v155
	v_fma_f16 v158, v138, s0, -v216
	v_add_f16_e32 v157, v158, v157
	v_fma_f16 v158, v28, s17, v189
	v_add_f16_e32 v16, v158, v16
	v_fma_f16 v158, v141, s17, -v190
	v_add_f16_e32 v146, v158, v146
	v_fma_f16 v158, v28, s1, v219
	;; [unrolled: 4-line block ×10, first 2 shown]
	v_add_f16_e32 v155, v158, v155
	v_fma_f16 v158, v159, s12, -v236
	v_add_f16_e32 v157, v158, v157
	v_pack_b32_f16 v16, v16, v146
	v_pack_b32_f16 v146, v155, v157
	ds_write2_b32 v92, v146, v16 offset0:12 offset1:13
	v_pk_add_f16 v16, v101, v166
	v_fma_f16 v101, v103, s4, -v137
	v_add_f16_e32 v100, v101, v100
	v_fma_f16 v101, v25, s12, v173
	v_fma_f16 v137, v138, s12, -v140
	v_add_f16_e32 v101, v101, v168
	v_fma_f16 v103, v103, s12, -v176
	v_add_f16_e32 v100, v137, v100
	v_fma_f16 v137, v20, s16, v183
	v_add_f16_e32 v103, v103, v170
	v_add_f16_e32 v101, v137, v101
	v_fma_f16 v137, v138, s16, -v184
	v_add_f16_e32 v103, v137, v103
	v_fma_f16 v137, v141, s16, -v143
	v_add_f16_e32 v100, v137, v100
	v_fma_f16 v137, v28, s5, v187
	v_add_f16_e32 v101, v137, v101
	v_fma_f16 v137, v141, s5, -v188
	v_add_f16_e32 v103, v137, v103
	v_fma_f16 v137, v144, s13, -v148
	v_add_f16_e32 v100, v137, v100
	v_fma_f16 v137, v24, s0, v191
	v_add_f16_e32 v101, v137, v101
	v_fma_f16 v137, v144, s0, -v192
	v_add_f16_e32 v103, v137, v103
	v_fma_f16 v137, v149, s5, -v151
	v_add_f16_e32 v100, v137, v100
	v_fma_f16 v137, v131, s17, v195
	v_add_f16_e32 v101, v137, v101
	v_fma_f16 v137, v149, s17, -v196
	v_add_f16_e32 v103, v137, v103
	v_fma_f16 v137, v152, s1, -v153
	v_add_f16_e32 v100, v137, v100
	v_fma_f16 v137, v30, s4, v199
	v_fma_f16 v138, v159, s17, -v160
	v_pk_add_f16 v16, v139, v16
	v_add_f16_e32 v101, v137, v101
	v_add_f16_e32 v100, v138, v100
	v_fma_f16 v138, v136, s13, v203
	v_pk_add_f16 v16, v142, v16
	v_fma_f16 v137, v152, s4, -v200
	v_add_f16_e32 v101, v138, v101
	v_pk_mul_f16 v138, v154, s36
	v_pk_add_f16 v16, v145, v16
	v_pack_b32_f16 v137, v137, v156
	v_bfi_b32 v103, s28, v103, v138
	v_pk_add_f16 v16, v150, v16
	v_pk_add_f16 v103, v137, v103
	v_mul_f16_e32 v137, 0xb836, v154
	v_bfi_b32 v137, s28, v137, v16
	v_pk_add_f16 v137, v204, v137 neg_lo:[0,1] neg_hi:[0,1]
	v_pk_add_f16 v16, v147, v16
	v_bfi_b32 v16, s28, v137, v16
	v_pk_add_f16 v16, v16, v103
	v_alignbit_b32 v100, v100, v16, 16
	v_pack_b32_f16 v16, v101, v16
	v_mul_f16_sdwa v137, v93, s24 dst_sel:DWORD dst_unused:UNUSED_PAD src0_sel:WORD_1 src1_sel:DWORD
	ds_write2_b32 v92, v16, v100 offset0:14 offset1:15
	v_fma_f16 v16, v56, s17, v137
	v_add_f16_e32 v100, v16, v0
	v_mul_f16_sdwa v16, v94, s25 dst_sel:DWORD dst_unused:UNUSED_PAD src0_sel:WORD_1 src1_sel:DWORD
	v_fma_f16 v101, v61, s0, v16
	v_lshrrev_b32_e32 v203, 16, v56
	v_mul_f16_e32 v138, 0xb964, v93
	v_add_f16_e32 v100, v101, v100
	v_fma_f16 v101, v203, s0, -v138
	v_lshrrev_b32_e32 v199, 16, v61
	v_mul_f16_e32 v139, 0xbbf7, v94
	v_add_f16_sdwa v101, v101, v0 dst_sel:DWORD dst_unused:UNUSED_PAD src0_sel:DWORD src1_sel:WORD_1
	v_fma_f16 v103, v199, s4, -v139
	v_mul_f16_e32 v141, 0xbb29, v93
	v_add_f16_e32 v101, v103, v101
	v_fma_f16 v103, v203, s1, -v141
	v_mul_f16_e32 v143, 0xba62, v94
	v_add_f16_sdwa v103, v103, v0 dst_sel:DWORD dst_unused:UNUSED_PAD src0_sel:DWORD src1_sel:WORD_1
	v_fma_f16 v140, v199, s12, -v143
	v_mul_f16_e32 v146, 0xbbf7, v93
	v_add_f16_e32 v103, v140, v103
	v_fma_f16 v140, v203, s4, -v146
	v_mul_f16_e32 v147, 0xb1e1, v94
	v_add_f16_sdwa v140, v140, v0 dst_sel:DWORD dst_unused:UNUSED_PAD src0_sel:DWORD src1_sel:WORD_1
	v_fma_f16 v142, v199, s16, -v147
	v_mul_f16_e32 v152, 0xbbb2, v93
	v_add_f16_e32 v142, v142, v140
	v_fma_f16 v140, v203, s5, -v152
	v_mul_f16_e32 v153, 0x3836, v94
	v_add_f16_sdwa v140, v140, v0 dst_sel:DWORD dst_unused:UNUSED_PAD src0_sel:DWORD src1_sel:WORD_1
	v_fma_f16 v144, v199, s13, -v153
	v_mul_f16_e32 v161, 0xba62, v93
	v_add_f16_e32 v145, v144, v140
	v_fma_f16 v140, v203, s12, -v161
	v_mul_f16_e32 v162, 0x3bb2, v94
	v_add_f16_sdwa v140, v140, v0 dst_sel:DWORD dst_unused:UNUSED_PAD src0_sel:DWORD src1_sel:WORD_1
	v_fma_f16 v144, v199, s5, -v162
	v_mul_f16_e32 v189, 0xb836, v93
	v_add_f16_e32 v148, v144, v140
	v_fma_f16 v140, v203, s13, -v189
	v_mul_f16_e32 v188, 0x3b29, v94
	s_mov_b32 s25, 0xb1e1b5c8
	v_add_f16_sdwa v140, v140, v0 dst_sel:DWORD dst_unused:UNUSED_PAD src0_sel:DWORD src1_sel:WORD_1
	v_fma_f16 v144, v199, s1, -v188
	s_mov_b32 s24, 0x3b76bbdd
	v_pk_mul_f16 v171, v93, s25
	s_mov_b32 s26, 0x35c8b964
	v_add_f16_e32 v150, v144, v140
	v_pk_fma_f16 v140, v56, s24, v171 op_sel:[0,0,1] op_sel_hi:[1,1,0] neg_lo:[0,0,1] neg_hi:[0,0,1]
	s_mov_b32 s25, 0x39e93b76
	v_pk_mul_f16 v174, v94, s26
	v_mul_f16_e32 v93, 0xb1e1, v93
	v_pk_add_f16 v140, v140, v0
	v_pk_fma_f16 v144, v61, s25, v174 op_sel:[0,0,1] op_sel_hi:[1,1,0] neg_lo:[0,0,1] neg_hi:[0,0,1]
	v_mul_f16_e32 v170, 0x35c8, v94
	v_fma_f16 v94, v203, s16, -v93
	v_pk_add_f16 v151, v144, v140
	v_add_f16_sdwa v94, v94, v0 dst_sel:DWORD dst_unused:UNUSED_PAD src0_sel:DWORD src1_sel:WORD_1
	v_fma_f16 v140, v199, s17, -v170
	v_add_f16_e32 v94, v140, v94
	v_mul_f16_sdwa v140, v95, s23 dst_sel:DWORD dst_unused:UNUSED_PAD src0_sel:WORD_1 src1_sel:DWORD
	v_fma_f16 v144, v64, s1, v140
	v_add_f16_e32 v100, v144, v100
	v_lshrrev_b32_e32 v207, 16, v64
	v_mul_f16_e32 v144, 0xba62, v95
	v_fma_f16 v149, v207, s12, -v144
	v_add_f16_e32 v101, v149, v101
	v_mul_f16_e32 v149, 0x31e1, v95
	v_fma_f16 v154, v207, s16, -v149
	v_mul_f16_e32 v157, 0x3bb2, v95
	v_add_f16_e32 v103, v154, v103
	v_fma_f16 v154, v207, s5, -v157
	v_mul_f16_e32 v165, 0x3964, v95
	v_add_f16_e32 v155, v154, v142
	v_fma_f16 v142, v207, s0, -v165
	v_mul_f16_e32 v172, 0xb5c8, v95
	v_add_f16_e32 v145, v142, v145
	v_fma_f16 v142, v207, s17, -v172
	v_mul_f16_e32 v194, 0xbbf7, v95
	s_mov_b32 s26, 0xb836bb29
	v_add_f16_e32 v156, v142, v148
	v_fma_f16 v142, v207, s4, -v194
	s_mov_b32 s23, 0x3722bacd
	v_pk_mul_f16 v186, v95, s26
	v_add_f16_e32 v150, v142, v150
	v_pk_fma_f16 v142, v64, s23, v186 op_sel:[0,0,1] op_sel_hi:[1,1,0] neg_lo:[0,0,1] neg_hi:[0,0,1]
	v_mul_f16_e32 v178, 0xb836, v95
	v_pk_add_f16 v151, v142, v151
	v_fma_f16 v95, v207, s13, -v178
	v_mul_f16_sdwa v142, v96, s22 dst_sel:DWORD dst_unused:UNUSED_PAD src0_sel:WORD_1 src1_sel:DWORD
	v_add_f16_e32 v94, v95, v94
	v_fma_f16 v95, v65, s4, v142
	v_lshrrev_b32_e32 v210, 16, v65
	v_mul_f16_e32 v148, 0xb1e1, v96
	v_add_f16_e32 v95, v95, v100
	v_fma_f16 v100, v210, s16, -v148
	v_mul_f16_e32 v154, 0x3bb2, v96
	v_add_f16_e32 v100, v100, v101
	v_fma_f16 v101, v210, s5, -v154
	v_mul_f16_e32 v160, 0x35c8, v96
	v_add_f16_e32 v101, v101, v103
	v_fma_f16 v103, v210, s17, -v160
	v_mul_f16_e32 v169, 0xbb29, v96
	v_add_f16_e32 v103, v103, v155
	v_fma_f16 v155, v210, s1, -v169
	v_mul_f16_e32 v184, 0xb836, v96
	v_add_f16_e32 v155, v155, v145
	v_fma_f16 v145, v210, s13, -v184
	v_mul_f16_e32 v198, 0x3a62, v96
	s_mov_b32 s26, 0x3964bbf7
	v_add_f16_e32 v156, v145, v156
	v_fma_f16 v145, v210, s12, -v198
	s_mov_b32 s22, 0x2de839e9
	v_pk_mul_f16 v192, v96, s26
	v_add_f16_e32 v150, v145, v150
	v_pk_fma_f16 v145, v65, s22, v192 op_sel:[0,0,1] op_sel_hi:[1,1,0] neg_lo:[0,0,1] neg_hi:[0,0,1]
	v_mul_f16_e32 v179, 0x3964, v96
	v_pk_add_f16 v158, v145, v151
	v_fma_f16 v96, v210, s0, -v179
	v_mul_f16_sdwa v145, v97, s21 dst_sel:DWORD dst_unused:UNUSED_PAD src0_sel:WORD_1 src1_sel:DWORD
	v_add_f16_e32 v94, v96, v94
	v_fma_f16 v96, v66, s5, v145
	v_lshrrev_b32_e32 v212, 16, v66
	v_mul_f16_e32 v151, 0x3836, v97
	v_add_f16_e32 v95, v96, v95
	v_fma_f16 v96, v212, s13, -v151
	v_mul_f16_e32 v159, 0x3964, v97
	v_add_f16_e32 v96, v96, v100
	;; [unrolled: 30-line block ×4, first 2 shown]
	v_fma_f16 v98, v213, s4, -v176
	v_mul_f16_e32 v187, 0x3a62, v99
	v_add_f16_e32 v97, v98, v97
	v_fma_f16 v98, v213, s12, -v187
	v_mul_f16_e32 v195, 0xb5c8, v99
	v_add_f16_e32 v98, v98, v100
	;; [unrolled: 3-line block ×4, first 2 shown]
	v_fma_f16 v100, v213, s0, -v209
	s_mov_b32 s26, 0xbbb2b836
	v_mul_f16_e32 v217, 0xbbb2, v99
	v_add_f16_e32 v175, v100, v156
	s_mov_b32 s19, 0xbacdb461
	v_pk_mul_f16 v208, v99, s26
	v_fma_f16 v99, v213, s5, -v217
	v_mul_f16_sdwa v156, v102, s18 dst_sel:DWORD dst_unused:UNUSED_PAD src0_sel:WORD_1 src1_sel:DWORD
	v_pk_fma_f16 v100, v104, s19, v208 op_sel:[0,0,1] op_sel_hi:[1,1,0] neg_lo:[0,0,1] neg_hi:[0,0,1]
	v_add_f16_e32 v218, v99, v94
	v_fma_f16 v94, v109, s16, v156
	v_lshrrev_b32_e32 v211, 16, v109
	v_mul_f16_e32 v185, 0xb836, v102
	v_pk_add_f16 v177, v100, v173
	v_add_f16_e32 v100, v94, v95
	v_fma_f16 v95, v211, s13, -v185
	v_mul_f16_e32 v193, 0x3964, v102
	v_mul_f16_e32 v173, 0x35c8, v102
	v_add_f16_e32 v97, v95, v97
	v_fma_f16 v95, v211, s0, -v193
	v_mul_f16_e32 v200, 0xba62, v102
	v_fma_f16 v94, v211, s17, -v173
	v_add_f16_e32 v99, v95, v98
	v_fma_f16 v95, v211, s12, -v200
	v_mul_f16_e32 v206, 0x3b29, v102
	v_add_f16_e32 v94, v94, v96
	v_add_f16_e32 v96, v95, v101
	v_fma_f16 v95, v211, s1, -v206
	v_add_f16_e32 v98, v95, v103
	v_mul_f16_e32 v215, 0xbbb2, v102
	s_mov_b32 s17, 0x3bf7b1e1
	v_pk_fma_f16 v103, v56, s24, v171 op_sel:[0,0,1] op_sel_hi:[1,1,0]
	v_fma_f16 v95, v211, s5, -v215
	v_pk_mul_f16 v214, v102, s17
	v_pack_b32_f16 v103, v170, v103
	s_mov_b32 s17, 0x5040100
	v_mul_f16_e32 v170, 0x3b76, v199
	v_add_f16_e32 v52, v95, v175
	s_mov_b32 s18, 0xbbdd2de8
	v_perm_b32 v170, v0, v170, s17
	v_fma_f16 v93, v203, s16, v93
	v_pk_mul_f16 v175, v61, s25
	s_mov_b32 s25, 0x7060302
	v_pk_fma_f16 v101, v109, s18, v214 op_sel:[0,0,1] op_sel_hi:[1,1,0] neg_lo:[0,0,1] neg_hi:[0,0,1]
	v_pk_add_f16 v103, v103, v170
	v_pack_b32_f16 v93, v93, v175
	v_perm_b32 v170, v174, v0, s25
	v_pk_add_f16 v101, v101, v177
	v_pk_add_f16 v93, v93, v170
	v_pk_mul_f16 v177, v64, s23
	v_mul_f16_e32 v170, 0xbacd, v207
	v_fma_f16 v17, v25, s0, v17
	v_pk_add_f16 v93, v93, v103
	v_pack_b32_f16 v103, v178, v177
	v_bfi_b32 v170, s28, v170, v186
	v_add_f16_e32 v17, v17, v163
	v_fma_f16 v20, v20, s1, v23
	v_pk_add_f16 v103, v103, v170
	v_pk_mul_f16 v178, v65, s22
	v_mul_f16_e32 v170, 0x39e9, v210
	v_add_f16_e32 v17, v20, v17
	v_fma_f16 v20, v28, s4, v27
	v_pk_add_f16 v93, v103, v93
	v_pack_b32_f16 v103, v179, v178
	v_bfi_b32 v170, s28, v170, v192
	v_add_f16_e32 v17, v20, v17
	v_fma_f16 v20, v24, s5, v31
	v_pk_add_f16 v103, v103, v170
	v_pk_mul_f16 v179, v66, s21
	v_mul_f16_e32 v170, 0xb8d2, v212
	v_add_f16_e32 v17, v20, v17
	;; [unrolled: 10-line block ×3, first 2 shown]
	v_fma_f16 v18, v136, s16, v18
	v_pk_add_f16 v93, v103, v93
	v_pack_b32_f16 v103, v182, v181
	v_bfi_b32 v170, s28, v170, v204
	v_add_f16_e32 v17, v18, v17
	v_add_f16_e32 v18, v21, v164
	v_pk_add_f16 v103, v103, v170
	v_pk_mul_f16 v182, v104, s19
	v_mul_f16_e32 v170, 0xb461, v213
	v_add_f16_e32 v18, v22, v18
	v_pk_add_f16 v93, v103, v93
	v_pack_b32_f16 v103, v217, v182
	v_bfi_b32 v170, s28, v170, v208
	v_add_f16_e32 v18, v26, v18
	v_pk_add_f16 v103, v103, v170
	v_add_f16_e32 v18, v29, v18
	v_pk_add_f16 v93, v103, v93
	v_mul_f16_e32 v103, 0x3bf7, v102
	v_mul_f16_e32 v102, 0x2de8, v211
	v_pk_mul_f16 v170, v109, s18
	v_add_f16_e32 v18, v132, v18
	v_bfi_b32 v102, s28, v102, v214
	v_pack_b32_f16 v217, v103, v170
	v_add_f16_e32 v18, v135, v18
	v_pk_add_f16 v102, v217, v102
	v_add_f16_e32 v18, v19, v18
	v_pk_add_f16 v102, v102, v93
	v_fma_f16 v93, v211, s4, -v103
	v_pack_b32_f16 v17, v17, v18
	v_add_co_u32_e64 v20, s[0:1], 17, v71
	v_add_f16_e32 v103, v93, v218
	ds_write_b32 v92, v17 offset:64
	v_mul_u32_u24_e32 v17, 17, v20
	buffer_store_dword v52, off, s[40:43], 0 offset:4 ; 4-byte Folded Spill
	buffer_store_dword v17, off, s[40:43], 0 offset:52 ; 4-byte Folded Spill
	s_and_saveexec_b64 s[0:1], vcc
	s_cbranch_execz .LBB0_7
; %bb.6:
	v_mul_f16_e32 v30, 0xbacd, v203
	v_mul_f16_e32 v132, 0x2de8, v199
	;; [unrolled: 1-line block ×7, first 2 shown]
	v_add_f16_e32 v30, v189, v30
	v_mul_f16_e32 v29, 0xbacd, v56
	v_mul_f16_e32 v220, 0xb8d2, v207
	;; [unrolled: 1-line block ×7, first 2 shown]
	v_add_f16_e32 v188, v188, v199
	v_add_f16_sdwa v30, v30, v0 dst_sel:DWORD dst_unused:UNUSED_PAD src0_sel:DWORD src1_sel:WORD_1
	v_mul_f16_e32 v19, 0x39e9, v203
	v_mul_f16_e32 v22, 0x3722, v203
	;; [unrolled: 1-line block ×18, first 2 shown]
	v_add_f16_e32 v30, v188, v30
	v_add_f16_e32 v194, v194, v207
	v_sub_f16_e32 v29, v29, v75
	v_mul_f16_e32 v218, 0x3722, v64
	v_mul_f16_e32 v219, 0xb8d2, v64
	v_mul_f16_e32 v221, 0xbbdd, v64
	v_mul_f16_e32 v223, 0xb461, v64
	v_mul_f16_e32 v225, 0x39e9, v64
	v_mul_f16_e32 v227, 0x3b76, v64
	v_mul_f16_e32 v64, 0x2de8, v64
	v_mul_f16_e32 v242, 0xbacd, v212
	v_mul_f16_e32 v244, 0x39e9, v212
	v_mul_f16_e32 v246, 0x3722, v212
	v_mul_f16_e32 v248, 0xbbdd, v212
	v_mul_f16_e32 v250, 0x2de8, v212
	v_mul_f16_e32 v212, 0x3b76, v212
	v_add_f16_e32 v30, v194, v30
	v_add_f16_e32 v198, v198, v210
	;; [unrolled: 1-line block ×3, first 2 shown]
	v_sub_f16_e32 v61, v61, v3
	v_mul_f16_e32 v229, 0x2de8, v65
	v_mul_f16_e32 v230, 0xbbdd, v65
	;; [unrolled: 1-line block ×9, first 2 shown]
	v_mov_b32_e32 v17, v33
	v_mul_f16_e32 v33, 0xbacd, v216
	v_mul_f16_e32 v35, 0x2de8, v216
	v_mov_b32_e32 v62, v46
	v_mul_f16_e32 v46, 0x39e9, v216
	v_mul_f16_e32 v216, 0xbbdd, v216
	v_add_f16_e32 v30, v198, v30
	v_add_f16_e32 v201, v201, v212
	;; [unrolled: 1-line block ×3, first 2 shown]
	v_sub_f16_e32 v61, v64, v2
	v_mul_f16_e32 v240, 0xb461, v66
	v_mul_f16_e32 v241, 0xbacd, v66
	;; [unrolled: 1-line block ×13, first 2 shown]
	v_add_f16_e32 v30, v201, v30
	v_add_f16_e32 v205, v205, v216
	;; [unrolled: 1-line block ×3, first 2 shown]
	v_sub_f16_e32 v61, v65, v120
	v_mul_f16_e32 v251, 0xb8d2, v68
	v_mul_f16_e32 v252, 0xb461, v68
	;; [unrolled: 1-line block ×4, first 2 shown]
	v_mov_b32_e32 v58, v34
	v_mul_f16_e32 v34, 0x2de8, v68
	v_mov_b32_e32 v60, v45
	v_mul_f16_e32 v45, 0x39e9, v68
	v_mul_f16_e32 v68, 0xbbdd, v68
	v_add_f16_e32 v30, v205, v30
	v_add_f16_e32 v209, v209, v213
	;; [unrolled: 1-line block ×3, first 2 shown]
	v_sub_f16_e32 v61, v66, v77
	v_mul_f16_e32 v125, 0xbacd, v104
	v_mul_f16_e32 v126, 0x3722, v104
	v_mul_f16_e32 v128, 0x2de8, v104
	v_mul_f16_e32 v52, 0xb8d2, v104
	v_mul_f16_e32 v55, 0x3b76, v104
	v_mul_f16_e32 v199, 0xbbdd, v104
	v_mul_f16_e32 v104, 0x39e9, v104
	v_add_f16_e32 v30, v209, v30
	v_mul_f16_e32 v209, 0xb461, v211
	v_add_f16_e32 v29, v61, v29
	v_sub_f16_e32 v61, v68, v78
	v_mul_f16_e32 v207, 0xbbdd, v109
	v_mul_f16_e32 v194, 0x3b76, v109
	;; [unrolled: 1-line block ×5, first 2 shown]
	v_add_f16_e32 v209, v215, v209
	v_mul_f16_e32 v215, 0x3722, v109
	v_mul_f16_e32 v109, 0xb461, v109
	v_add_f16_e32 v29, v61, v29
	v_sub_f16_e32 v61, v104, v79
	v_add_f16_e32 v29, v61, v29
	v_sub_f16_e32 v61, v109, v80
	v_add_f16_e32 v28, v161, v28
	v_pk_add_f16 v1, v1, v0
	v_add_f16_e32 v29, v61, v29
	v_add_f16_sdwa v28, v28, v0 dst_sel:DWORD dst_unused:UNUSED_PAD src0_sel:DWORD src1_sel:WORD_1
	v_add_f16_e32 v61, v162, v217
	v_pk_add_f16 v1, v10, v1
	v_add_f16_e32 v28, v61, v28
	v_add_f16_e32 v61, v172, v228
	v_pk_add_f16 v1, v11, v1
	v_add_f16_e32 v28, v61, v28
	;; [unrolled: 3-line block ×3, first 2 shown]
	v_add_f16_e32 v61, v191, v250
	v_pk_add_f16 v1, v9, v1
	buffer_load_dword v9, off, s[40:43], 0  ; 4-byte Folded Reload
	v_add_f16_e32 v28, v61, v28
	v_add_f16_e32 v46, v196, v46
	v_mul_f16_e32 v27, 0xb8d2, v56
	v_mul_f16_e32 v210, 0x3b76, v211
	;; [unrolled: 1-line block ×6, first 2 shown]
	v_add_f16_e32 v28, v46, v28
	v_add_f16_e32 v46, v202, v188
	v_add_f16_e32 v28, v46, v28
	v_add_f16_e32 v46, v206, v211
	v_sub_f16_e32 v27, v27, v115
	v_add_f16_e32 v28, v46, v28
	v_add_f16_e32 v27, v27, v0
	v_sub_f16_e32 v46, v203, v116
	v_add_f16_e32 v27, v46, v27
	v_sub_f16_e32 v46, v227, v117
	v_add_f16_e32 v27, v46, v27
	v_sub_f16_e32 v46, v238, v118
	v_add_f16_e32 v27, v46, v27
	v_sub_f16_e32 v46, v249, v119
	v_add_f16_e32 v27, v46, v27
	v_sub_f16_e32 v45, v45, v32
	v_add_f16_e32 v27, v45, v27
	v_sub_f16_e32 v45, v199, v73
	v_add_f16_e32 v27, v45, v27
	v_sub_f16_e32 v45, v215, v74
	v_add_f16_e32 v26, v152, v26
	v_add_f16_e32 v27, v45, v27
	v_add_f16_sdwa v26, v26, v0 dst_sel:DWORD dst_unused:UNUSED_PAD src0_sel:DWORD src1_sel:WORD_1
	v_add_f16_e32 v45, v153, v164
	v_add_f16_e32 v26, v45, v26
	v_add_f16_e32 v45, v165, v226
	v_add_f16_e32 v26, v45, v26
	v_add_f16_e32 v45, v169, v237
	v_add_f16_e32 v26, v45, v26
	v_add_f16_e32 v45, v183, v248
	v_add_f16_e32 v26, v45, v26
	v_add_f16_e32 v35, v190, v35
	v_mul_f16_e32 v25, 0xb461, v56
	v_add_f16_e32 v26, v35, v26
	v_add_f16_e32 v35, v195, v189
	v_add_f16_e32 v26, v35, v26
	v_add_f16_e32 v35, v200, v213
	v_sub_f16_e32 v25, v25, v50
	v_add_f16_e32 v26, v35, v26
	v_add_f16_e32 v25, v25, v0
	v_sub_f16_e32 v35, v163, v57
	v_add_f16_e32 v25, v35, v25
	v_sub_f16_e32 v35, v225, v108
	v_add_f16_e32 v25, v35, v25
	v_sub_f16_e32 v35, v236, v110
	v_add_f16_e32 v25, v35, v25
	v_sub_f16_e32 v35, v247, v111
	v_add_f16_e32 v25, v35, v25
	v_sub_f16_e32 v34, v34, v112
	v_add_f16_e32 v25, v34, v25
	v_sub_f16_e32 v34, v55, v113
	v_add_f16_e32 v25, v34, v25
	v_sub_f16_e32 v34, v205, v114
	v_add_f16_e32 v24, v146, v24
	v_add_f16_e32 v25, v34, v25
	v_add_f16_sdwa v24, v24, v0 dst_sel:DWORD dst_unused:UNUSED_PAD src0_sel:DWORD src1_sel:WORD_1
	v_add_f16_e32 v34, v147, v136
	v_add_f16_e32 v24, v34, v24
	v_add_f16_e32 v34, v157, v224
	v_add_f16_e32 v24, v34, v24
	v_add_f16_e32 v34, v160, v235
	v_add_f16_e32 v24, v34, v24
	v_add_f16_e32 v34, v168, v246
	v_add_f16_e32 v24, v34, v24
	v_add_f16_e32 v33, v180, v33
	v_mul_f16_e32 v23, 0x2de8, v56
	;; [unrolled: 33-line block ×4, first 2 shown]
	v_add_f16_e32 v19, v33, v19
	v_add_f16_e32 v33, v166, v127
	;; [unrolled: 1-line block ×4, first 2 shown]
	v_sub_f16_e32 v18, v18, v17
	v_add_f16_e32 v19, v33, v19
	v_add_f16_e32 v18, v18, v0
	v_sub_f16_e32 v33, v131, v121
	v_add_f16_e32 v18, v33, v18
	v_sub_f16_e32 v33, v219, v60
	;; [unrolled: 2-line block ×6, first 2 shown]
	v_mul_f16_e32 v95, 0x3b76, v56
	v_pk_mul_f16 v56, v56, s24
	v_alignbit_b32 v174, v174, v174, 16
	v_add_f16_e32 v18, v33, v18
	v_sub_f16_e32 v33, v194, v63
	v_bfi_b32 v16, s28, v16, v175
	v_alignbit_b32 v171, v171, v171, 16
	v_add_f16_e32 v18, v33, v18
	v_bfi_b32 v33, s28, v137, v56
	v_pk_add_f16 v16, v31, v16 neg_lo:[0,1] neg_hi:[0,1]
	v_pk_add_f16 v31, v174, v175
	v_alignbit_b32 v186, v186, v186, 16
	v_pk_add_f16 v17, v95, v33 neg_lo:[0,1] neg_hi:[0,1]
	v_pk_add_f16 v33, v171, v56
	v_bfi_b32 v16, s28, v16, v31
	v_bfi_b32 v31, s28, v140, v177
	;; [unrolled: 1-line block ×3, first 2 shown]
	v_pk_add_f16 v31, v218, v31 neg_lo:[0,1] neg_hi:[0,1]
	v_pk_add_f16 v33, v186, v177
	v_alignbit_b32 v192, v192, v192, 16
	v_bfi_b32 v31, s28, v31, v33
	v_bfi_b32 v33, s28, v142, v178
	v_pk_add_f16 v1, v4, v1
	v_pk_add_f16 v33, v229, v33 neg_lo:[0,1] neg_hi:[0,1]
	v_pk_add_f16 v34, v192, v178
	v_pk_add_f16 v1, v5, v1
	v_alignbit_b32 v197, v197, v197, 16
	v_bfi_b32 v33, s28, v33, v34
	v_bfi_b32 v34, s28, v145, v179
	v_pk_add_f16 v1, v82, v1
	v_pk_add_f16 v34, v240, v34 neg_lo:[0,1] neg_hi:[0,1]
	v_pk_add_f16 v35, v197, v179
	v_pk_add_f16 v1, v83, v1
	;; [unrolled: 1-line block ×3, first 2 shown]
	v_alignbit_b32 v204, v204, v204, 16
	v_bfi_b32 v34, s28, v34, v35
	v_bfi_b32 v35, s28, v150, v181
	v_pk_add_f16 v1, v6, v1
	v_pk_add_f16 v0, v16, v0
	v_pk_add_f16 v35, v251, v35 neg_lo:[0,1] neg_hi:[0,1]
	v_pk_add_f16 v45, v204, v181
	v_pk_add_f16 v1, v7, v1
	;; [unrolled: 1-line block ×3, first 2 shown]
	v_alignbit_b32 v208, v208, v208, 16
	v_bfi_b32 v35, s28, v35, v45
	v_bfi_b32 v45, s28, v155, v182
	v_pk_add_f16 v1, v12, v1
	v_pk_add_f16 v0, v33, v0
	v_alignbit_b32 v214, v214, v214, 16
	v_pk_add_f16 v45, v125, v45 neg_lo:[0,1] neg_hi:[0,1]
	v_pk_add_f16 v46, v208, v182
	v_pk_add_f16 v1, v13, v1
	;; [unrolled: 1-line block ×3, first 2 shown]
	v_bfi_b32 v2, s28, v156, v170
	v_bfi_b32 v45, s28, v45, v46
	v_pk_add_f16 v1, v14, v1
	v_pk_add_f16 v0, v35, v0
	v_pk_add_f16 v2, v207, v2 neg_lo:[0,1] neg_hi:[0,1]
	v_pk_add_f16 v3, v214, v170
	v_mul_u32_u24_e32 v8, 17, v20
	v_pk_add_f16 v1, v15, v1
	v_pk_add_f16 v0, v45, v0
	v_bfi_b32 v2, s28, v2, v3
	s_waitcnt vmcnt(0)
	v_lshl_add_u32 v8, v8, 2, v9
	v_pk_add_f16 v1, v76, v1
	v_pk_add_f16 v0, v2, v0
	ds_write2_b32 v8, v1, v0 offset1:1
	v_pack_b32_f16 v0, v21, v22
	v_pack_b32_f16 v1, v18, v19
	v_add_f16_e32 v30, v209, v30
	ds_write2_b32 v8, v1, v0 offset0:2 offset1:3
	v_pack_b32_f16 v0, v25, v26
	v_pack_b32_f16 v1, v23, v24
	ds_write2_b32 v8, v1, v0 offset0:4 offset1:5
	v_pack_b32_f16 v0, v29, v30
	v_pack_b32_f16 v1, v27, v28
	ds_write2_b32 v8, v1, v0 offset0:6 offset1:7
	v_perm_b32 v0, v102, v101, s17
	v_alignbit_b32 v1, v103, v102, 16
	ds_write2_b32 v8, v0, v1 offset0:8 offset1:9
	buffer_load_dword v1, off, s[40:43], 0 offset:4 ; 4-byte Folded Reload
	v_perm_b32 v0, v98, v44, s17
	s_waitcnt vmcnt(0)
	v_perm_b32 v1, v1, v43, s17
	ds_write2_b32 v8, v1, v0 offset0:10 offset1:11
	v_perm_b32 v0, v99, v42, s17
	v_perm_b32 v1, v96, v41, s17
	ds_write2_b32 v8, v1, v0 offset0:12 offset1:13
	v_perm_b32 v0, v94, v40, s17
	v_perm_b32 v1, v97, v39, s17
	ds_write2_b32 v8, v1, v0 offset0:14 offset1:15
	v_bfi_b32 v0, s28, v100, v101
	ds_write_b32 v8, v0 offset:64
.LBB0_7:
	s_or_b64 exec, exec, s[0:1]
	v_lshlrev_b32_e32 v16, 4, v71
	s_waitcnt lgkmcnt(0)
	; wave barrier
	s_waitcnt lgkmcnt(0)
	global_load_dwordx4 v[0:3], v16, s[2:3]
	v_add_co_u32_e64 v24, s[0:1], 34, v71
	s_movk_i32 s4, 0xf1
	v_mul_lo_u16_sdwa v4, v24, s4 dst_sel:DWORD dst_unused:UNUSED_PAD src0_sel:BYTE_0 src1_sel:DWORD
	v_lshrrev_b16_e32 v4, 12, v4
	v_mul_lo_u16_e32 v4, 17, v4
	v_sub_u16_e32 v23, v24, v4
	v_lshlrev_b16_e32 v4, 2, v23
	v_and_b32_e32 v4, 0xfc, v4
	v_lshlrev_b32_e32 v4, 2, v4
	ds_read2_b32 v[17:18], v72 offset1:17
	ds_read2_b32 v[21:22], v72 offset0:68 offset1:85
	ds_read2_b32 v[25:26], v72 offset0:170 offset1:187
	ds_read2_b32 v[29:30], v72 offset0:238 offset1:255
	ds_read2_b32 v[33:34], v72 offset0:102 offset1:119
	ds_read2_b32 v[45:46], v72 offset0:34 offset1:51
	ds_read2_b32 v[47:48], v72 offset0:204 offset1:221
	v_add_co_u32_e64 v28, s[0:1], 51, v71
	global_load_dwordx4 v[4:7], v4, s[2:3]
	v_mul_lo_u16_sdwa v8, v28, s4 dst_sel:DWORD dst_unused:UNUSED_PAD src0_sel:BYTE_0 src1_sel:DWORD
	v_lshrrev_b16_e32 v8, 12, v8
	v_mul_lo_u16_e32 v8, 17, v8
	v_sub_u16_e32 v27, v28, v8
	s_movk_i32 s0, 0x44
	v_lshlrev_b16_e32 v8, 2, v27
	v_add_co_u32_e64 v32, s[0:1], s0, v71
	v_and_b32_e32 v8, 0xfc, v8
	v_add_u32_e32 v54, 0x400, v72
	v_mul_lo_u16_sdwa v9, v32, s4 dst_sel:DWORD dst_unused:UNUSED_PAD src0_sel:BYTE_0 src1_sel:DWORD
	v_lshlrev_b32_e32 v8, 2, v8
	ds_read2_b32 v[49:50], v72 offset0:136 offset1:153
	ds_read_b32 v19, v72 offset:1632
	ds_read2_b32 v[51:52], v54 offset0:84 offset1:101
	ds_read2_b32 v[55:56], v54 offset0:16 offset1:33
	;; [unrolled: 1-line block ×4, first 2 shown]
	v_lshrrev_b16_e32 v12, 12, v9
	global_load_dwordx4 v[8:11], v8, s[2:3]
	v_mul_lo_u16_e32 v12, 17, v12
	v_sub_u16_e32 v69, v32, v12
	v_lshlrev_b16_e32 v12, 2, v69
	v_and_b32_e32 v12, 0xfc, v12
	v_lshlrev_b32_e32 v12, 2, v12
	global_load_dwordx4 v[12:15], v12, s[2:3]
	s_waitcnt lgkmcnt(11)
	v_lshrrev_b32_e32 v35, 16, v22
	s_waitcnt lgkmcnt(9)
	v_lshrrev_b32_e32 v62, 16, v30
	;; [unrolled: 2-line block ×3, first 2 shown]
	v_lshrrev_b32_e32 v64, 16, v33
	v_lshrrev_b32_e32 v65, 16, v26
	s_waitcnt lgkmcnt(2)
	v_lshrrev_b32_e32 v109, 16, v55
	v_lshrrev_b32_e32 v110, 16, v52
	;; [unrolled: 1-line block ×5, first 2 shown]
	s_waitcnt lgkmcnt(1)
	v_lshrrev_b32_e32 v112, 16, v57
	v_lshrrev_b32_e32 v91, 16, v49
	;; [unrolled: 1-line block ×3, first 2 shown]
	s_waitcnt lgkmcnt(0)
	; wave barrier
	s_waitcnt lgkmcnt(0)
	buffer_load_dword v90, off, s[40:43], 0 ; 4-byte Folded Reload
	v_lshrrev_b32_e32 v113, 16, v59
	v_lshrrev_b32_e32 v114, 16, v58
	v_lshrrev_b32_e32 v105, 16, v50
	v_lshrrev_b32_e32 v61, 16, v25
	v_lshrrev_b32_e32 v106, 16, v29
	v_lshrrev_b32_e32 v115, 16, v60
	s_movk_i32 s1, 0x3b9c
	s_mov_b32 s5, 0xbb9c
	v_lshrrev_b32_e32 v107, 16, v19
	s_movk_i32 s0, 0x38b4
	s_mov_b32 s12, 0xb8b4
	s_movk_i32 s4, 0x34f2
	v_lshrrev_b32_e32 v31, 16, v17
	v_lshrrev_b32_e32 v63, 16, v18
	;; [unrolled: 1-line block ×5, first 2 shown]
	v_lshlrev_b32_e32 v20, 4, v20
	v_lshlrev_b32_e32 v24, 4, v24
	;; [unrolled: 1-line block ×4, first 2 shown]
	s_waitcnt vmcnt(4)
	v_mul_f16_sdwa v116, v35, v0 dst_sel:DWORD dst_unused:UNUSED_PAD src0_sel:DWORD src1_sel:WORD_1
	v_mul_f16_sdwa v117, v22, v0 dst_sel:DWORD dst_unused:UNUSED_PAD src0_sel:DWORD src1_sel:WORD_1
	v_fma_f16 v22, v22, v0, -v116
	v_mul_f16_sdwa v116, v62, v2 dst_sel:DWORD dst_unused:UNUSED_PAD src0_sel:DWORD src1_sel:WORD_1
	v_fma_f16 v116, v30, v2, -v116
	v_mul_f16_sdwa v30, v30, v2 dst_sel:DWORD dst_unused:UNUSED_PAD src0_sel:DWORD src1_sel:WORD_1
	v_fma_f16 v30, v62, v2, v30
	v_mul_f16_sdwa v62, v108, v3 dst_sel:DWORD dst_unused:UNUSED_PAD src0_sel:DWORD src1_sel:WORD_1
	v_fma_f16 v62, v51, v3, -v62
	v_mul_f16_sdwa v51, v51, v3 dst_sel:DWORD dst_unused:UNUSED_PAD src0_sel:DWORD src1_sel:WORD_1
	v_fma_f16 v51, v108, v3, v51
	;; [unrolled: 4-line block ×6, first 2 shown]
	s_waitcnt vmcnt(3)
	v_mul_f16_sdwa v110, v67, v4 dst_sel:DWORD dst_unused:UNUSED_PAD src0_sel:DWORD src1_sel:WORD_1
	v_fma_f16 v110, v34, v4, -v110
	v_mul_f16_sdwa v34, v34, v4 dst_sel:DWORD dst_unused:UNUSED_PAD src0_sel:DWORD src1_sel:WORD_1
	v_fma_f16 v34, v67, v4, v34
	v_mul_f16_sdwa v67, v68, v5 dst_sel:DWORD dst_unused:UNUSED_PAD src0_sel:DWORD src1_sel:WORD_1
	v_fma_f16 v67, v47, v5, -v67
	v_mul_f16_sdwa v47, v47, v5 dst_sel:DWORD dst_unused:UNUSED_PAD src0_sel:DWORD src1_sel:WORD_1
	v_fma_f16 v47, v68, v5, v47
	v_mul_f16_sdwa v68, v111, v6 dst_sel:DWORD dst_unused:UNUSED_PAD src0_sel:DWORD src1_sel:WORD_1
	v_fma_f16 v68, v56, v6, -v68
	v_mul_f16_sdwa v56, v56, v6 dst_sel:DWORD dst_unused:UNUSED_PAD src0_sel:DWORD src1_sel:WORD_1
	v_fma_f16 v56, v111, v6, v56
	v_mul_f16_sdwa v111, v112, v7 dst_sel:DWORD dst_unused:UNUSED_PAD src0_sel:DWORD src1_sel:WORD_1
	v_fma_f16 v111, v57, v7, -v111
	v_mul_f16_sdwa v57, v57, v7 dst_sel:DWORD dst_unused:UNUSED_PAD src0_sel:DWORD src1_sel:WORD_1
	v_fma_f16 v57, v112, v7, v57
	s_waitcnt vmcnt(2)
	v_mul_f16_sdwa v112, v91, v8 dst_sel:DWORD dst_unused:UNUSED_PAD src0_sel:DWORD src1_sel:WORD_1
	v_fma_f16 v112, v49, v8, -v112
	v_mul_f16_sdwa v49, v49, v8 dst_sel:DWORD dst_unused:UNUSED_PAD src0_sel:DWORD src1_sel:WORD_1
	v_fma_f16 v49, v91, v8, v49
	v_mul_f16_sdwa v91, v93, v9 dst_sel:DWORD dst_unused:UNUSED_PAD src0_sel:DWORD src1_sel:WORD_1
	v_fma_f16 v91, v48, v9, -v91
	v_mul_f16_sdwa v48, v48, v9 dst_sel:DWORD dst_unused:UNUSED_PAD src0_sel:DWORD src1_sel:WORD_1
	v_fma_f16 v48, v93, v9, v48
	;; [unrolled: 4-line block ×4, first 2 shown]
	s_waitcnt vmcnt(1)
	v_mul_f16_sdwa v114, v105, v12 dst_sel:DWORD dst_unused:UNUSED_PAD src0_sel:DWORD src1_sel:WORD_1
	v_mul_f16_sdwa v118, v61, v1 dst_sel:DWORD dst_unused:UNUSED_PAD src0_sel:DWORD src1_sel:WORD_1
	v_fma_f16 v114, v50, v12, -v114
	v_mul_f16_sdwa v50, v50, v12 dst_sel:DWORD dst_unused:UNUSED_PAD src0_sel:DWORD src1_sel:WORD_1
	v_mul_f16_sdwa v119, v25, v1 dst_sel:DWORD dst_unused:UNUSED_PAD src0_sel:DWORD src1_sel:WORD_1
	v_fma_f16 v25, v25, v1, -v118
	v_fma_f16 v50, v105, v12, v50
	v_mul_f16_sdwa v105, v106, v13 dst_sel:DWORD dst_unused:UNUSED_PAD src0_sel:DWORD src1_sel:WORD_1
	v_fma_f16 v35, v35, v0, v117
	v_fma_f16 v105, v29, v13, -v105
	v_mul_f16_sdwa v29, v29, v13 dst_sel:DWORD dst_unused:UNUSED_PAD src0_sel:DWORD src1_sel:WORD_1
	v_add_f16_e32 v117, v25, v116
	v_fma_f16 v61, v61, v1, v119
	v_fma_f16 v29, v106, v13, v29
	v_mul_f16_sdwa v106, v115, v14 dst_sel:DWORD dst_unused:UNUSED_PAD src0_sel:DWORD src1_sel:WORD_1
	v_fma_f16 v117, v117, -0.5, v17
	v_sub_f16_e32 v118, v35, v51
	v_fma_f16 v106, v60, v14, -v106
	v_mul_f16_sdwa v60, v60, v14 dst_sel:DWORD dst_unused:UNUSED_PAD src0_sel:DWORD src1_sel:WORD_1
	v_fma_f16 v119, v118, s1, v117
	v_sub_f16_e32 v120, v61, v30
	v_sub_f16_e32 v121, v22, v25
	;; [unrolled: 1-line block ×3, first 2 shown]
	v_fma_f16 v117, v118, s5, v117
	v_fma_f16 v60, v115, v14, v60
	v_mul_f16_sdwa v115, v107, v15 dst_sel:DWORD dst_unused:UNUSED_PAD src0_sel:DWORD src1_sel:WORD_1
	v_fma_f16 v119, v120, s0, v119
	v_add_f16_e32 v121, v121, v122
	v_fma_f16 v117, v120, s12, v117
	v_fma_f16 v115, v19, v15, -v115
	v_mul_f16_sdwa v19, v19, v15 dst_sel:DWORD dst_unused:UNUSED_PAD src0_sel:DWORD src1_sel:WORD_1
	v_fma_f16 v119, v121, s4, v119
	v_fma_f16 v117, v121, s4, v117
	v_add_f16_e32 v121, v22, v62
	v_fma_f16 v19, v107, v15, v19
	v_add_f16_e32 v107, v17, v22
	v_fma_f16 v17, v121, -0.5, v17
	v_add_f16_e32 v107, v107, v25
	v_fma_f16 v121, v120, s5, v17
	v_sub_f16_e32 v122, v25, v22
	v_sub_f16_e32 v123, v116, v62
	v_fma_f16 v17, v120, s1, v17
	v_add_f16_e32 v120, v61, v30
	v_add_f16_e32 v107, v107, v116
	v_fma_f16 v121, v118, s0, v121
	v_add_f16_e32 v122, v122, v123
	v_fma_f16 v17, v118, s12, v17
	v_fma_f16 v120, v120, -0.5, v31
	v_sub_f16_e32 v22, v22, v62
	v_add_f16_e32 v107, v107, v62
	v_fma_f16 v121, v122, s4, v121
	v_fma_f16 v17, v122, s4, v17
	;; [unrolled: 1-line block ×3, first 2 shown]
	v_sub_f16_e32 v25, v25, v116
	v_sub_f16_e32 v116, v35, v61
	;; [unrolled: 1-line block ×3, first 2 shown]
	v_fma_f16 v120, v22, s1, v120
	v_fma_f16 v62, v25, s12, v62
	v_add_f16_e32 v116, v116, v122
	v_fma_f16 v120, v25, s0, v120
	v_add_f16_e32 v118, v31, v35
	v_fma_f16 v62, v116, s4, v62
	v_fma_f16 v116, v116, s4, v120
	v_add_f16_e32 v120, v35, v51
	v_add_f16_e32 v118, v118, v61
	v_fma_f16 v31, v120, -0.5, v31
	v_add_f16_e32 v118, v118, v30
	v_fma_f16 v120, v25, s1, v31
	v_sub_f16_e32 v35, v61, v35
	v_sub_f16_e32 v30, v30, v51
	v_fma_f16 v25, v25, s5, v31
	v_fma_f16 v120, v22, s12, v120
	v_add_f16_e32 v30, v35, v30
	v_fma_f16 v22, v22, s0, v25
	v_fma_f16 v35, v30, s4, v120
	;; [unrolled: 1-line block ×3, first 2 shown]
	v_add_f16_e32 v30, v64, v65
	v_fma_f16 v30, v30, -0.5, v18
	v_sub_f16_e32 v31, v33, v52
	v_add_f16_e32 v118, v118, v51
	v_fma_f16 v51, v31, s1, v30
	v_sub_f16_e32 v61, v26, v55
	v_sub_f16_e32 v120, v108, v64
	;; [unrolled: 1-line block ×3, first 2 shown]
	v_fma_f16 v30, v31, s5, v30
	v_fma_f16 v51, v61, s0, v51
	v_add_f16_e32 v120, v120, v122
	v_fma_f16 v30, v61, s12, v30
	v_fma_f16 v51, v120, s4, v51
	;; [unrolled: 1-line block ×3, first 2 shown]
	v_add_f16_e32 v120, v108, v109
	v_add_f16_e32 v25, v18, v108
	v_fma_f16 v18, v120, -0.5, v18
	v_add_f16_e32 v25, v25, v64
	v_fma_f16 v120, v61, s5, v18
	v_fma_f16 v18, v61, s1, v18
	v_add_f16_e32 v61, v26, v55
	v_add_f16_e32 v25, v25, v65
	v_sub_f16_e32 v122, v64, v108
	v_sub_f16_e32 v123, v65, v109
	v_fma_f16 v61, v61, -0.5, v63
	v_sub_f16_e32 v108, v108, v109
	v_add_f16_e32 v25, v25, v109
	v_fma_f16 v120, v31, s0, v120
	v_add_f16_e32 v122, v122, v123
	v_fma_f16 v18, v31, s12, v18
	v_fma_f16 v109, v108, s5, v61
	v_sub_f16_e32 v64, v64, v65
	v_fma_f16 v120, v122, s4, v120
	v_fma_f16 v18, v122, s4, v18
	;; [unrolled: 1-line block ×3, first 2 shown]
	v_sub_f16_e32 v109, v33, v26
	v_sub_f16_e32 v122, v52, v55
	v_fma_f16 v61, v108, s1, v61
	v_add_f16_e32 v109, v109, v122
	v_fma_f16 v61, v64, s0, v61
	v_add_f16_e32 v31, v63, v33
	v_fma_f16 v65, v109, s4, v65
	v_fma_f16 v61, v109, s4, v61
	v_add_f16_e32 v109, v33, v52
	v_add_f16_e32 v31, v31, v26
	v_fma_f16 v63, v109, -0.5, v63
	v_add_f16_e32 v31, v31, v55
	v_fma_f16 v109, v64, s1, v63
	v_sub_f16_e32 v26, v26, v33
	v_sub_f16_e32 v33, v55, v52
	v_add_f16_e32 v55, v67, v68
	v_add_f16_e32 v31, v31, v52
	v_fma_f16 v109, v108, s12, v109
	v_add_f16_e32 v26, v26, v33
	v_fma_f16 v52, v64, s5, v63
	v_fma_f16 v55, v55, -0.5, v45
	v_sub_f16_e32 v63, v34, v57
	v_fma_f16 v33, v26, s4, v109
	v_fma_f16 v52, v108, s0, v52
	;; [unrolled: 1-line block ×3, first 2 shown]
	v_sub_f16_e32 v108, v47, v56
	v_sub_f16_e32 v109, v110, v67
	;; [unrolled: 1-line block ×3, first 2 shown]
	v_fma_f16 v55, v63, s5, v55
	v_fma_f16 v64, v108, s0, v64
	v_add_f16_e32 v109, v109, v122
	v_fma_f16 v55, v108, s12, v55
	v_fma_f16 v64, v109, s4, v64
	;; [unrolled: 1-line block ×3, first 2 shown]
	v_add_f16_e32 v109, v110, v111
	v_fma_f16 v26, v26, s4, v52
	v_add_f16_e32 v52, v45, v110
	v_fma_f16 v45, v109, -0.5, v45
	v_add_f16_e32 v52, v52, v67
	v_fma_f16 v109, v108, s5, v45
	v_fma_f16 v45, v108, s1, v45
	v_add_f16_e32 v108, v47, v56
	v_add_f16_e32 v52, v52, v68
	v_sub_f16_e32 v122, v67, v110
	v_sub_f16_e32 v123, v68, v111
	v_fma_f16 v108, v108, -0.5, v66
	v_sub_f16_e32 v110, v110, v111
	v_add_f16_e32 v52, v52, v111
	v_fma_f16 v109, v63, s0, v109
	v_add_f16_e32 v122, v122, v123
	v_fma_f16 v45, v63, s12, v45
	v_fma_f16 v111, v110, s5, v108
	v_sub_f16_e32 v67, v67, v68
	v_fma_f16 v109, v122, s4, v109
	v_fma_f16 v45, v122, s4, v45
	;; [unrolled: 1-line block ×3, first 2 shown]
	v_sub_f16_e32 v111, v34, v47
	v_sub_f16_e32 v122, v57, v56
	v_fma_f16 v108, v110, s1, v108
	v_add_f16_e32 v63, v66, v34
	v_add_f16_e32 v111, v111, v122
	v_fma_f16 v108, v67, s0, v108
	v_add_f16_e32 v63, v63, v47
	v_fma_f16 v68, v111, s4, v68
	v_fma_f16 v108, v111, s4, v108
	v_add_f16_e32 v111, v34, v57
	v_add_f16_e32 v63, v63, v56
	v_fma_f16 v66, v111, -0.5, v66
	v_add_f16_e32 v63, v63, v57
	v_fma_f16 v111, v67, s1, v66
	v_sub_f16_e32 v34, v47, v34
	v_sub_f16_e32 v47, v56, v57
	v_add_f16_e32 v57, v91, v93
	v_fma_f16 v111, v110, s12, v111
	v_add_f16_e32 v34, v34, v47
	v_fma_f16 v56, v67, s5, v66
	v_fma_f16 v57, v57, -0.5, v46
	v_sub_f16_e32 v66, v49, v58
	v_fma_f16 v47, v34, s4, v111
	v_fma_f16 v56, v110, s0, v56
	;; [unrolled: 1-line block ×3, first 2 shown]
	v_sub_f16_e32 v110, v48, v59
	v_sub_f16_e32 v111, v112, v91
	;; [unrolled: 1-line block ×3, first 2 shown]
	v_fma_f16 v57, v66, s5, v57
	v_fma_f16 v67, v110, s0, v67
	v_add_f16_e32 v111, v111, v122
	v_fma_f16 v57, v110, s12, v57
	v_fma_f16 v67, v111, s4, v67
	;; [unrolled: 1-line block ×3, first 2 shown]
	v_add_f16_e32 v111, v112, v113
	v_fma_f16 v34, v34, s4, v56
	v_add_f16_e32 v56, v46, v112
	v_fma_f16 v46, v111, -0.5, v46
	v_add_f16_e32 v56, v56, v91
	v_fma_f16 v111, v110, s5, v46
	v_fma_f16 v46, v110, s1, v46
	v_add_f16_e32 v110, v48, v59
	v_add_f16_e32 v56, v56, v93
	v_sub_f16_e32 v122, v91, v112
	v_sub_f16_e32 v123, v93, v113
	v_fma_f16 v110, v110, -0.5, v70
	v_sub_f16_e32 v112, v112, v113
	v_add_f16_e32 v56, v56, v113
	v_fma_f16 v111, v66, s0, v111
	v_add_f16_e32 v122, v122, v123
	v_fma_f16 v46, v66, s12, v46
	v_fma_f16 v113, v112, s5, v110
	v_sub_f16_e32 v91, v91, v93
	v_fma_f16 v111, v122, s4, v111
	v_fma_f16 v46, v122, s4, v46
	v_fma_f16 v93, v91, s12, v113
	v_sub_f16_e32 v113, v49, v48
	v_sub_f16_e32 v122, v58, v59
	v_fma_f16 v110, v112, s1, v110
	v_add_f16_e32 v113, v113, v122
	v_fma_f16 v110, v91, s0, v110
	v_add_f16_e32 v66, v70, v49
	v_fma_f16 v93, v113, s4, v93
	v_fma_f16 v110, v113, s4, v110
	v_add_f16_e32 v113, v49, v58
	v_add_f16_e32 v66, v66, v48
	v_fma_f16 v70, v113, -0.5, v70
	v_add_f16_e32 v66, v66, v59
	v_fma_f16 v113, v91, s1, v70
	v_sub_f16_e32 v48, v48, v49
	v_sub_f16_e32 v49, v59, v58
	v_add_f16_e32 v59, v105, v106
	v_add_f16_e32 v66, v66, v58
	v_fma_f16 v113, v112, s12, v113
	v_add_f16_e32 v48, v48, v49
	v_fma_f16 v58, v91, s5, v70
	v_fma_f16 v59, v59, -0.5, v21
	v_sub_f16_e32 v70, v50, v19
	v_fma_f16 v49, v48, s4, v113
	v_fma_f16 v58, v112, s0, v58
	;; [unrolled: 1-line block ×3, first 2 shown]
	v_sub_f16_e32 v112, v29, v60
	v_sub_f16_e32 v113, v114, v105
	;; [unrolled: 1-line block ×3, first 2 shown]
	v_fma_f16 v59, v70, s5, v59
	v_fma_f16 v91, v112, s0, v91
	v_add_f16_e32 v113, v113, v122
	v_fma_f16 v59, v112, s12, v59
	v_fma_f16 v91, v113, s4, v91
	;; [unrolled: 1-line block ×3, first 2 shown]
	v_add_f16_e32 v113, v114, v115
	v_fma_f16 v48, v48, s4, v58
	v_add_f16_e32 v58, v21, v114
	v_fma_f16 v21, v113, -0.5, v21
	v_add_f16_e32 v58, v58, v105
	v_fma_f16 v113, v112, s5, v21
	v_fma_f16 v21, v112, s1, v21
	v_add_f16_e32 v112, v29, v60
	v_add_f16_e32 v58, v58, v106
	v_sub_f16_e32 v122, v105, v114
	v_sub_f16_e32 v123, v106, v115
	v_fma_f16 v112, v112, -0.5, v104
	v_sub_f16_e32 v114, v114, v115
	v_add_f16_e32 v58, v58, v115
	v_fma_f16 v113, v70, s0, v113
	v_add_f16_e32 v122, v122, v123
	v_fma_f16 v21, v70, s12, v21
	v_fma_f16 v115, v114, s5, v112
	v_sub_f16_e32 v105, v105, v106
	v_fma_f16 v113, v122, s4, v113
	v_fma_f16 v21, v122, s4, v21
	;; [unrolled: 1-line block ×3, first 2 shown]
	v_sub_f16_e32 v115, v50, v29
	v_sub_f16_e32 v122, v19, v60
	v_add_f16_e32 v115, v115, v122
	v_fma_f16 v122, v115, s4, v106
	v_fma_f16 v106, v114, s1, v112
	v_add_f16_e32 v70, v104, v50
	v_fma_f16 v106, v105, s0, v106
	v_pack_b32_f16 v35, v121, v35
	v_pack_b32_f16 v17, v17, v22
	v_add_f16_e32 v70, v70, v29
	v_fma_f16 v112, v115, s4, v106
	v_add_f16_e32 v106, v50, v19
	ds_write2_b32 v72, v35, v17 offset0:34 offset1:51
	v_pack_b32_f16 v17, v117, v116
	v_pack_b32_f16 v22, v25, v31
	v_add_f16_e32 v70, v70, v60
	v_fma_f16 v104, v106, -0.5, v104
	ds_write2_b32 v72, v17, v22 offset0:68 offset1:85
	v_pack_b32_f16 v17, v51, v65
	v_pack_b32_f16 v22, v120, v33
	v_add_f16_e32 v70, v70, v19
	v_fma_f16 v106, v105, s1, v104
	v_sub_f16_e32 v29, v29, v50
	v_sub_f16_e32 v19, v60, v19
	v_fma_f16 v50, v105, s5, v104
	ds_write2_b32 v72, v17, v22 offset0:102 offset1:119
	v_pack_b32_f16 v17, v18, v26
	v_pack_b32_f16 v18, v30, v61
	v_fma_f16 v106, v114, s12, v106
	v_add_f16_e32 v19, v29, v19
	v_fma_f16 v50, v114, s0, v50
	ds_write2_b32 v72, v17, v18 offset0:136 offset1:153
	v_and_b32_e32 v17, 0xff, v23
	v_fma_f16 v29, v19, s4, v106
	v_fma_f16 v19, v19, s4, v50
	v_pack_b32_f16 v50, v107, v118
	v_pack_b32_f16 v60, v119, v62
	s_waitcnt vmcnt(0)
	v_lshl_add_u32 v104, v17, 2, v90
	v_pack_b32_f16 v17, v52, v63
	v_pack_b32_f16 v18, v64, v68
	ds_write2_b32 v72, v50, v60 offset1:17
	ds_write2_b32 v104, v17, v18 offset0:170 offset1:187
	v_pack_b32_f16 v17, v109, v47
	v_pack_b32_f16 v18, v45, v34
	ds_write2_b32 v104, v17, v18 offset0:204 offset1:221
	v_pack_b32_f16 v17, v55, v108
	ds_write_b32 v104, v17 offset:952
	v_and_b32_e32 v17, 0xff, v27
	v_lshl_add_u32 v105, v17, 2, v90
	v_pack_b32_f16 v17, v56, v66
	v_pack_b32_f16 v18, v67, v93
	v_add_u32_e32 v22, 0x200, v105
	ds_write2_b32 v22, v17, v18 offset0:127 offset1:144
	v_pack_b32_f16 v17, v111, v49
	v_pack_b32_f16 v18, v46, v48
	v_add_u32_e32 v22, 0x400, v105
	ds_write2_b32 v22, v17, v18 offset0:33 offset1:50
	v_pack_b32_f16 v17, v57, v110
	ds_write_b32 v105, v17 offset:1292
	v_and_b32_e32 v17, 0xff, v69
	v_lshl_add_u32 v106, v17, 2, v90
	v_pack_b32_f16 v17, v58, v70
	v_pack_b32_f16 v18, v91, v122
	v_add_u32_e32 v22, 0x400, v106
	ds_write2_b32 v22, v17, v18 offset0:84 offset1:101
	v_pack_b32_f16 v17, v113, v29
	v_pack_b32_f16 v18, v21, v19
	ds_write2_b32 v22, v17, v18 offset0:118 offset1:135
	v_pack_b32_f16 v17, v59, v112
	ds_write_b32 v106, v17 offset:1632
	s_waitcnt lgkmcnt(0)
	; wave barrier
	s_waitcnt lgkmcnt(0)
	global_load_dwordx4 v[16:19], v16, s[2:3] offset:272
	s_nop 0
	global_load_dwordx4 v[20:23], v20, s[2:3] offset:272
	s_nop 0
	global_load_dwordx4 v[24:27], v24, s[2:3] offset:272
	ds_read2_b32 v[45:46], v72 offset1:17
	ds_read2_b32 v[50:51], v72 offset0:68 offset1:85
	ds_read2_b32 v[47:48], v72 offset0:170 offset1:187
	;; [unrolled: 1-line block ×5, first 2 shown]
	global_load_dwordx4 v[28:31], v28, s[2:3] offset:272
	ds_read2_b32 v[61:62], v54 offset0:16 offset1:33
	global_load_dwordx4 v[32:35], v32, s[2:3] offset:272
	s_waitcnt lgkmcnt(5)
	v_lshrrev_b32_e32 v52, 16, v51
	s_waitcnt lgkmcnt(4)
	v_lshrrev_b32_e32 v91, 16, v47
	;; [unrolled: 2-line block ×5, first 2 shown]
	v_lshrrev_b32_e32 v112, 16, v48
	s_waitcnt lgkmcnt(0)
	v_lshrrev_b32_e32 v113, 16, v61
	ds_read2_b32 v[65:66], v72 offset0:204 offset1:221
	v_lshrrev_b32_e32 v114, 16, v58
	v_lshrrev_b32_e32 v116, 16, v60
	ds_read2_b32 v[67:68], v54 offset0:118 offset1:135
	ds_read2_b32 v[69:70], v72 offset0:136 offset1:153
	s_waitcnt lgkmcnt(2)
	v_lshrrev_b32_e32 v117, 16, v65
	v_lshrrev_b32_e32 v118, 16, v62
	ds_read2_b32 v[107:108], v54 offset0:50 offset1:67
	s_waitcnt lgkmcnt(2)
	v_lshrrev_b32_e32 v119, 16, v67
	s_waitcnt lgkmcnt(1)
	v_lshrrev_b32_e32 v121, 16, v69
	v_lshrrev_b32_e32 v122, 16, v66
	;; [unrolled: 1-line block ×3, first 2 shown]
	s_waitcnt lgkmcnt(0)
	v_lshrrev_b32_e32 v123, 16, v107
	v_lshrrev_b32_e32 v127, 16, v70
	ds_read_b32 v125, v72 offset:1632
	v_lshrrev_b32_e32 v128, 16, v55
	v_lshrrev_b32_e32 v129, 16, v108
	;; [unrolled: 1-line block ×4, first 2 shown]
	s_waitcnt lgkmcnt(0)
	v_lshrrev_b32_e32 v130, 16, v125
	ds_read2_b32 v[63:64], v72 offset0:34 offset1:51
	v_lshrrev_b32_e32 v126, 16, v50
	s_waitcnt lgkmcnt(0)
	v_lshrrev_b32_e32 v115, 16, v63
	v_lshrrev_b32_e32 v120, 16, v64
	s_waitcnt vmcnt(4)
	v_mul_f16_sdwa v131, v52, v16 dst_sel:DWORD dst_unused:UNUSED_PAD src0_sel:DWORD src1_sel:WORD_1
	v_fma_f16 v131, v51, v16, -v131
	v_mul_f16_sdwa v51, v51, v16 dst_sel:DWORD dst_unused:UNUSED_PAD src0_sel:DWORD src1_sel:WORD_1
	v_fma_f16 v51, v52, v16, v51
	v_mul_f16_sdwa v52, v91, v17 dst_sel:DWORD dst_unused:UNUSED_PAD src0_sel:DWORD src1_sel:WORD_1
	v_fma_f16 v52, v47, v17, -v52
	v_mul_f16_sdwa v47, v47, v17 dst_sel:DWORD dst_unused:UNUSED_PAD src0_sel:DWORD src1_sel:WORD_1
	v_fma_f16 v47, v91, v17, v47
	v_mul_f16_sdwa v91, v93, v18 dst_sel:DWORD dst_unused:UNUSED_PAD src0_sel:DWORD src1_sel:WORD_1
	v_fma_f16 v91, v56, v18, -v91
	v_mul_f16_sdwa v56, v56, v18 dst_sel:DWORD dst_unused:UNUSED_PAD src0_sel:DWORD src1_sel:WORD_1
	v_fma_f16 v56, v93, v18, v56
	v_mul_f16_sdwa v93, v109, v19 dst_sel:DWORD dst_unused:UNUSED_PAD src0_sel:DWORD src1_sel:WORD_1
	v_fma_f16 v93, v57, v19, -v93
	v_mul_f16_sdwa v57, v57, v19 dst_sel:DWORD dst_unused:UNUSED_PAD src0_sel:DWORD src1_sel:WORD_1
	v_fma_f16 v57, v109, v19, v57
	s_waitcnt vmcnt(3)
	v_mul_f16_sdwa v109, v111, v20 dst_sel:DWORD dst_unused:UNUSED_PAD src0_sel:DWORD src1_sel:WORD_1
	v_fma_f16 v109, v59, v20, -v109
	v_mul_f16_sdwa v59, v59, v20 dst_sel:DWORD dst_unused:UNUSED_PAD src0_sel:DWORD src1_sel:WORD_1
	v_fma_f16 v59, v111, v20, v59
	v_mul_f16_sdwa v111, v112, v21 dst_sel:DWORD dst_unused:UNUSED_PAD src0_sel:DWORD src1_sel:WORD_1
	v_fma_f16 v111, v48, v21, -v111
	v_mul_f16_sdwa v48, v48, v21 dst_sel:DWORD dst_unused:UNUSED_PAD src0_sel:DWORD src1_sel:WORD_1
	v_fma_f16 v48, v112, v21, v48
	v_mul_f16_sdwa v112, v113, v22 dst_sel:DWORD dst_unused:UNUSED_PAD src0_sel:DWORD src1_sel:WORD_1
	v_fma_f16 v112, v61, v22, -v112
	v_mul_f16_sdwa v61, v61, v22 dst_sel:DWORD dst_unused:UNUSED_PAD src0_sel:DWORD src1_sel:WORD_1
	v_fma_f16 v61, v113, v22, v61
	v_mul_f16_sdwa v113, v114, v23 dst_sel:DWORD dst_unused:UNUSED_PAD src0_sel:DWORD src1_sel:WORD_1
	v_fma_f16 v113, v58, v23, -v113
	v_mul_f16_sdwa v58, v58, v23 dst_sel:DWORD dst_unused:UNUSED_PAD src0_sel:DWORD src1_sel:WORD_1
	v_fma_f16 v58, v114, v23, v58
	;; [unrolled: 17-line block ×4, first 2 shown]
	s_waitcnt vmcnt(0)
	v_mul_f16_sdwa v124, v127, v32 dst_sel:DWORD dst_unused:UNUSED_PAD src0_sel:DWORD src1_sel:WORD_1
	v_fma_f16 v124, v70, v32, -v124
	v_mul_f16_sdwa v70, v70, v32 dst_sel:DWORD dst_unused:UNUSED_PAD src0_sel:DWORD src1_sel:WORD_1
	v_fma_f16 v70, v127, v32, v70
	v_mul_f16_sdwa v127, v128, v33 dst_sel:DWORD dst_unused:UNUSED_PAD src0_sel:DWORD src1_sel:WORD_1
	v_fma_f16 v127, v55, v33, -v127
	v_mul_f16_sdwa v55, v55, v33 dst_sel:DWORD dst_unused:UNUSED_PAD src0_sel:DWORD src1_sel:WORD_1
	v_add_f16_e32 v132, v52, v91
	v_fma_f16 v55, v128, v33, v55
	v_mul_f16_sdwa v128, v129, v34 dst_sel:DWORD dst_unused:UNUSED_PAD src0_sel:DWORD src1_sel:WORD_1
	v_fma_f16 v132, v132, -0.5, v45
	v_sub_f16_e32 v133, v51, v57
	v_fma_f16 v128, v108, v34, -v128
	v_mul_f16_sdwa v108, v108, v34 dst_sel:DWORD dst_unused:UNUSED_PAD src0_sel:DWORD src1_sel:WORD_1
	v_fma_f16 v134, v133, s1, v132
	v_sub_f16_e32 v135, v47, v56
	v_sub_f16_e32 v136, v131, v52
	;; [unrolled: 1-line block ×3, first 2 shown]
	v_fma_f16 v132, v133, s5, v132
	v_fma_f16 v108, v129, v34, v108
	v_mul_f16_sdwa v129, v130, v35 dst_sel:DWORD dst_unused:UNUSED_PAD src0_sel:DWORD src1_sel:WORD_1
	v_fma_f16 v134, v135, s0, v134
	v_add_f16_e32 v136, v136, v137
	v_fma_f16 v132, v135, s12, v132
	v_fma_f16 v129, v125, v35, -v129
	v_mul_f16_sdwa v125, v125, v35 dst_sel:DWORD dst_unused:UNUSED_PAD src0_sel:DWORD src1_sel:WORD_1
	v_fma_f16 v134, v136, s4, v134
	v_fma_f16 v132, v136, s4, v132
	v_add_f16_e32 v136, v131, v93
	v_fma_f16 v125, v130, v35, v125
	v_add_f16_e32 v130, v45, v131
	v_fma_f16 v45, v136, -0.5, v45
	v_fma_f16 v136, v135, s5, v45
	v_sub_f16_e32 v137, v52, v131
	v_sub_f16_e32 v138, v91, v93
	v_fma_f16 v45, v135, s1, v45
	v_add_f16_e32 v137, v137, v138
	v_fma_f16 v45, v133, s12, v45
	v_fma_f16 v136, v133, s0, v136
	;; [unrolled: 1-line block ×3, first 2 shown]
	v_add_f16_e32 v45, v49, v51
	v_add_f16_e32 v45, v45, v47
	;; [unrolled: 1-line block ×8, first 2 shown]
	v_fma_f16 v45, v45, -0.5, v49
	v_sub_f16_e32 v93, v131, v93
	v_fma_f16 v131, v93, s5, v45
	v_sub_f16_e32 v52, v52, v91
	v_fma_f16 v136, v137, s4, v136
	v_fma_f16 v91, v52, s12, v131
	v_sub_f16_e32 v131, v51, v47
	v_sub_f16_e32 v137, v57, v56
	v_fma_f16 v45, v93, s1, v45
	v_add_f16_e32 v131, v131, v137
	v_fma_f16 v45, v52, s0, v45
	v_fma_f16 v137, v131, s4, v91
	;; [unrolled: 1-line block ×3, first 2 shown]
	v_add_f16_e32 v45, v51, v57
	v_fma_f16 v45, v45, -0.5, v49
	v_fma_f16 v49, v52, s1, v45
	v_sub_f16_e32 v47, v47, v51
	v_sub_f16_e32 v51, v56, v57
	v_fma_f16 v45, v52, s5, v45
	v_add_f16_e32 v47, v47, v51
	v_fma_f16 v45, v93, s0, v45
	v_fma_f16 v57, v47, s4, v45
	v_add_f16_e32 v45, v46, v109
	v_add_f16_e32 v45, v45, v111
	;; [unrolled: 1-line block ×3, first 2 shown]
	v_fma_f16 v49, v93, s12, v49
	v_add_f16_e32 v93, v45, v113
	v_add_f16_e32 v45, v111, v112
	v_fma_f16 v56, v47, s4, v49
	v_fma_f16 v45, v45, -0.5, v46
	v_sub_f16_e32 v47, v59, v58
	v_fma_f16 v49, v47, s1, v45
	v_sub_f16_e32 v51, v48, v61
	v_sub_f16_e32 v52, v109, v111
	;; [unrolled: 1-line block ×3, first 2 shown]
	v_fma_f16 v45, v47, s5, v45
	v_add_f16_e32 v52, v52, v91
	v_fma_f16 v45, v51, s12, v45
	v_fma_f16 v139, v52, s4, v45
	v_add_f16_e32 v45, v109, v113
	v_fma_f16 v49, v51, s0, v49
	v_fma_f16 v45, v45, -0.5, v46
	v_fma_f16 v138, v52, s4, v49
	v_fma_f16 v46, v51, s5, v45
	v_sub_f16_e32 v49, v111, v109
	v_sub_f16_e32 v52, v112, v113
	v_fma_f16 v45, v51, s1, v45
	v_add_f16_e32 v49, v49, v52
	v_fma_f16 v45, v47, s12, v45
	v_fma_f16 v141, v49, s4, v45
	v_add_f16_e32 v45, v110, v59
	v_add_f16_e32 v45, v45, v48
	;; [unrolled: 1-line block ×3, first 2 shown]
	v_fma_f16 v46, v47, s0, v46
	v_add_f16_e32 v142, v45, v58
	v_add_f16_e32 v45, v48, v61
	v_fma_f16 v140, v49, s4, v46
	v_fma_f16 v45, v45, -0.5, v110
	v_sub_f16_e32 v46, v109, v113
	v_fma_f16 v47, v46, s5, v45
	v_sub_f16_e32 v49, v111, v112
	v_sub_f16_e32 v51, v59, v48
	v_sub_f16_e32 v52, v58, v61
	v_fma_f16 v45, v46, s1, v45
	v_add_f16_e32 v51, v51, v52
	v_fma_f16 v45, v49, s0, v45
	v_fma_f16 v144, v51, s4, v45
	v_add_f16_e32 v45, v59, v58
	v_fma_f16 v47, v49, s12, v47
	v_fma_f16 v45, v45, -0.5, v110
	v_fma_f16 v143, v51, s4, v47
	v_fma_f16 v47, v49, s1, v45
	v_sub_f16_e32 v48, v48, v59
	v_sub_f16_e32 v51, v61, v58
	v_fma_f16 v45, v49, s5, v45
	v_add_f16_e32 v48, v48, v51
	v_fma_f16 v45, v46, s0, v45
	v_fma_f16 v59, v48, s4, v45
	v_add_f16_e32 v45, v63, v114
	v_add_f16_e32 v45, v45, v116
	v_add_f16_e32 v45, v45, v117
	v_add_f16_e32 v61, v45, v118
	v_add_f16_e32 v45, v116, v117
	v_fma_f16 v47, v46, s12, v47
	v_fma_f16 v45, v45, -0.5, v63
	v_sub_f16_e32 v46, v60, v67
	v_fma_f16 v58, v48, s4, v47
	v_fma_f16 v47, v46, s1, v45
	v_sub_f16_e32 v48, v65, v62
	v_sub_f16_e32 v49, v114, v116
	v_sub_f16_e32 v51, v118, v117
	v_fma_f16 v45, v46, s5, v45
	v_add_f16_e32 v49, v49, v51
	v_fma_f16 v45, v48, s12, v45
	v_fma_f16 v146, v49, s4, v45
	v_add_f16_e32 v45, v114, v118
	v_fma_f16 v47, v48, s0, v47
	v_fma_f16 v45, v45, -0.5, v63
	v_fma_f16 v145, v49, s4, v47
	v_fma_f16 v47, v48, s5, v45
	v_sub_f16_e32 v49, v116, v114
	v_sub_f16_e32 v51, v117, v118
	v_fma_f16 v45, v48, s1, v45
	v_add_f16_e32 v49, v49, v51
	v_fma_f16 v45, v46, s12, v45
	v_fma_f16 v147, v49, s4, v45
	v_add_f16_e32 v45, v115, v60
	v_add_f16_e32 v45, v45, v65
	v_add_f16_e32 v45, v45, v62
	v_add_f16_e32 v148, v45, v67
	v_add_f16_e32 v45, v65, v62
	v_fma_f16 v47, v46, s0, v47
	v_fma_f16 v45, v45, -0.5, v115
	v_sub_f16_e32 v46, v114, v118
	v_fma_f16 v63, v49, s4, v47
	;; [unrolled: 28-line block ×3, first 2 shown]
	v_fma_f16 v47, v46, s1, v45
	v_sub_f16_e32 v48, v66, v107
	v_sub_f16_e32 v49, v119, v121
	;; [unrolled: 1-line block ×3, first 2 shown]
	v_fma_f16 v45, v46, s5, v45
	v_fma_f16 v47, v48, s0, v47
	v_add_f16_e32 v49, v49, v51
	v_fma_f16 v45, v48, s12, v45
	v_fma_f16 v67, v49, s4, v47
	;; [unrolled: 1-line block ×3, first 2 shown]
	v_add_f16_e32 v45, v119, v123
	v_fma_f16 v49, v45, -0.5, v64
	v_fma_f16 v45, v48, s5, v49
	v_fma_f16 v48, v48, s1, v49
	;; [unrolled: 1-line block ×4, first 2 shown]
	v_add_f16_e32 v48, v120, v69
	v_add_f16_e32 v48, v48, v66
	;; [unrolled: 1-line block ×3, first 2 shown]
	v_sub_f16_e32 v51, v121, v119
	v_sub_f16_e32 v52, v122, v123
	v_add_f16_e32 v64, v48, v68
	v_add_f16_e32 v48, v66, v107
	;; [unrolled: 1-line block ×3, first 2 shown]
	v_fma_f16 v48, v48, -0.5, v120
	v_sub_f16_e32 v49, v119, v123
	v_fma_f16 v45, v51, s4, v45
	v_fma_f16 v46, v51, s4, v46
	;; [unrolled: 1-line block ×3, first 2 shown]
	v_sub_f16_e32 v52, v121, v122
	v_sub_f16_e32 v91, v69, v66
	;; [unrolled: 1-line block ×3, first 2 shown]
	v_fma_f16 v48, v49, s1, v48
	v_add_f16_e32 v91, v91, v109
	v_fma_f16 v48, v52, s0, v48
	v_fma_f16 v110, v91, s4, v48
	v_add_f16_e32 v48, v69, v68
	v_fma_f16 v51, v52, s12, v51
	v_fma_f16 v48, v48, -0.5, v120
	v_fma_f16 v119, v91, s4, v51
	v_fma_f16 v51, v52, s1, v48
	v_sub_f16_e32 v66, v66, v69
	v_sub_f16_e32 v68, v107, v68
	v_fma_f16 v48, v52, s5, v48
	v_fma_f16 v51, v49, s12, v51
	v_add_f16_e32 v66, v66, v68
	v_fma_f16 v48, v49, s0, v48
	v_add_f16_e32 v49, v127, v128
	v_fma_f16 v109, v66, s4, v51
	v_fma_f16 v111, v66, s4, v48
	v_fma_f16 v51, v49, -0.5, v50
	v_sub_f16_e32 v66, v70, v125
	v_fma_f16 v49, v66, s1, v51
	v_sub_f16_e32 v68, v55, v108
	v_sub_f16_e32 v52, v124, v127
	;; [unrolled: 1-line block ×3, first 2 shown]
	v_fma_f16 v51, v66, s5, v51
	v_fma_f16 v49, v68, s0, v49
	v_add_f16_e32 v52, v52, v69
	v_fma_f16 v51, v68, s12, v51
	v_fma_f16 v49, v52, s4, v49
	;; [unrolled: 1-line block ×3, first 2 shown]
	v_add_f16_e32 v51, v124, v129
	v_fma_f16 v51, v51, -0.5, v50
	v_add_f16_e32 v48, v50, v124
	v_fma_f16 v50, v68, s5, v51
	v_fma_f16 v51, v68, s1, v51
	;; [unrolled: 1-line block ×4, first 2 shown]
	v_add_f16_e32 v66, v126, v70
	v_add_f16_e32 v66, v66, v55
	;; [unrolled: 1-line block ×3, first 2 shown]
	v_sub_f16_e32 v69, v127, v124
	v_sub_f16_e32 v91, v128, v129
	v_add_f16_e32 v112, v66, v125
	v_add_f16_e32 v66, v55, v108
	;; [unrolled: 1-line block ×3, first 2 shown]
	v_fma_f16 v66, v66, -0.5, v126
	v_sub_f16_e32 v68, v124, v129
	v_fma_f16 v50, v69, s4, v50
	v_fma_f16 v51, v69, s4, v51
	;; [unrolled: 1-line block ×3, first 2 shown]
	v_sub_f16_e32 v91, v127, v128
	v_sub_f16_e32 v107, v70, v55
	;; [unrolled: 1-line block ×3, first 2 shown]
	v_fma_f16 v66, v68, s1, v66
	v_add_f16_e32 v107, v107, v113
	v_fma_f16 v66, v91, s0, v66
	v_fma_f16 v115, v107, s4, v66
	v_add_f16_e32 v66, v70, v125
	v_fma_f16 v69, v91, s12, v69
	v_fma_f16 v66, v66, -0.5, v126
	v_fma_f16 v113, v107, s4, v69
	v_fma_f16 v69, v91, s1, v66
	v_sub_f16_e32 v55, v55, v70
	v_sub_f16_e32 v70, v108, v125
	v_fma_f16 v66, v91, s5, v66
	v_fma_f16 v69, v68, s12, v69
	v_add_f16_e32 v55, v55, v70
	v_fma_f16 v66, v68, s0, v66
	v_fma_f16 v114, v55, s4, v69
	;; [unrolled: 1-line block ×3, first 2 shown]
	v_pack_b32_f16 v55, v130, v135
	ds_write_b32 v72, v55
	v_lshl_add_u32 v91, v71, 2, v90
	v_pack_b32_f16 v55, v134, v137
	v_pack_b32_f16 v69, v138, v143
	;; [unrolled: 1-line block ×3, first 2 shown]
	ds_write2_b32 v91, v55, v69 offset0:85 offset1:102
	v_pack_b32_f16 v55, v140, v58
	v_pack_b32_f16 v57, v133, v57
	ds_write2_b32 v91, v56, v55 offset0:170 offset1:187
	v_pack_b32_f16 v55, v141, v59
	v_add_u32_e32 v56, 0x200, v91
	v_pack_b32_f16 v66, v132, v131
	ds_write2_b32 v56, v57, v55 offset0:127 offset1:144
	v_pack_b32_f16 v55, v139, v144
	v_add_u32_e32 v56, 0x400, v91
	v_pack_b32_f16 v68, v93, v142
	ds_write2_b32 v56, v66, v55 offset0:84 offset1:101
	v_pack_b32_f16 v55, v61, v148
	ds_write2_b32 v91, v68, v55 offset0:17 offset1:34
	v_pack_b32_f16 v55, v145, v117
	ds_write_b32 v72, v55 offset:476
	v_pack_b32_f16 v55, v63, v60
	ds_write_b32 v72, v55 offset:816
	;; [unrolled: 2-line block ×5, first 2 shown]
	v_pack_b32_f16 v55, v67, v119
	v_add_f16_e32 v48, v48, v127
	ds_write_b32 v72, v55 offset:544
	v_pack_b32_f16 v55, v45, v109
	v_add_f16_e32 v48, v48, v128
	ds_write_b32 v72, v55 offset:884
	;; [unrolled: 3-line block ×3, first 2 shown]
	v_pack_b32_f16 v55, v47, v110
	ds_write_b32 v72, v55 offset:1564
	v_pack_b32_f16 v55, v48, v112
	ds_write_b32 v91, v55 offset:272
	;; [unrolled: 2-line block ×6, first 2 shown]
	s_waitcnt lgkmcnt(0)
	; wave barrier
	s_waitcnt lgkmcnt(0)
	global_load_dword v57, v[36:37], off offset:1700
	s_add_u32 s0, s14, 0x6a4
	s_addc_u32 s1, s15, 0
	global_load_dword v58, v53, s[0:1] offset:100
	global_load_dword v59, v53, s[0:1] offset:200
	;; [unrolled: 1-line block ×12, first 2 shown]
	ds_read2_b32 v[55:56], v72 offset1:25
	s_waitcnt lgkmcnt(0)
	v_lshrrev_b32_e32 v68, 16, v55
	s_waitcnt vmcnt(11)
	v_mul_f16_sdwa v93, v56, v58 dst_sel:DWORD dst_unused:UNUSED_PAD src0_sel:DWORD src1_sel:WORD_1
	v_mul_f16_sdwa v69, v68, v57 dst_sel:DWORD dst_unused:UNUSED_PAD src0_sel:DWORD src1_sel:WORD_1
	v_fma_f16 v69, v55, v57, -v69
	v_mul_f16_sdwa v55, v55, v57 dst_sel:DWORD dst_unused:UNUSED_PAD src0_sel:DWORD src1_sel:WORD_1
	v_fma_f16 v55, v68, v57, v55
	v_lshrrev_b32_e32 v68, 16, v56
	v_pack_b32_f16 v57, v69, v55
	v_mul_f16_sdwa v55, v68, v58 dst_sel:DWORD dst_unused:UNUSED_PAD src0_sel:DWORD src1_sel:WORD_1
	v_fma_f16 v69, v56, v58, -v55
	ds_read2_b32 v[55:56], v72 offset0:50 offset1:75
	v_fma_f16 v58, v68, v58, v93
	global_load_dword v68, v53, s[0:1] offset:1300
	v_pack_b32_f16 v58, v69, v58
	global_load_dword v69, v53, s[0:1] offset:1400
	ds_write2_b32 v72, v57, v58 offset1:25
	s_waitcnt lgkmcnt(1)
	v_lshrrev_b32_e32 v57, 16, v55
	s_waitcnt vmcnt(12)
	v_mul_f16_sdwa v58, v57, v59 dst_sel:DWORD dst_unused:UNUSED_PAD src0_sel:DWORD src1_sel:WORD_1
	v_fma_f16 v58, v55, v59, -v58
	v_mul_f16_sdwa v55, v55, v59 dst_sel:DWORD dst_unused:UNUSED_PAD src0_sel:DWORD src1_sel:WORD_1
	v_fma_f16 v55, v57, v59, v55
	v_pack_b32_f16 v57, v58, v55
	v_lshrrev_b32_e32 v58, 16, v56
	s_waitcnt vmcnt(11)
	v_mul_f16_sdwa v55, v58, v60 dst_sel:DWORD dst_unused:UNUSED_PAD src0_sel:DWORD src1_sel:WORD_1
	v_mul_f16_sdwa v93, v56, v60 dst_sel:DWORD dst_unused:UNUSED_PAD src0_sel:DWORD src1_sel:WORD_1
	v_fma_f16 v59, v56, v60, -v55
	v_fma_f16 v58, v58, v60, v93
	v_pack_b32_f16 v58, v59, v58
	global_load_dword v59, v53, s[0:1] offset:1500
	global_load_dword v93, v53, s[0:1] offset:1600
	ds_read2_b32 v[55:56], v72 offset0:100 offset1:125
	ds_write2_b32 v72, v57, v58 offset0:50 offset1:75
	s_waitcnt lgkmcnt(1)
	v_lshrrev_b32_e32 v57, 16, v55
	s_waitcnt vmcnt(12)
	v_mul_f16_sdwa v58, v57, v61 dst_sel:DWORD dst_unused:UNUSED_PAD src0_sel:DWORD src1_sel:WORD_1
	v_fma_f16 v58, v55, v61, -v58
	v_mul_f16_sdwa v55, v55, v61 dst_sel:DWORD dst_unused:UNUSED_PAD src0_sel:DWORD src1_sel:WORD_1
	v_lshrrev_b32_e32 v60, 16, v56
	v_fma_f16 v55, v57, v61, v55
	s_waitcnt vmcnt(11)
	v_mul_f16_sdwa v57, v60, v62 dst_sel:DWORD dst_unused:UNUSED_PAD src0_sel:DWORD src1_sel:WORD_1
	v_pack_b32_f16 v55, v58, v55
	v_fma_f16 v61, v56, v62, -v57
	ds_read2_b32 v[57:58], v72 offset0:150 offset1:175
	v_mul_f16_sdwa v56, v56, v62 dst_sel:DWORD dst_unused:UNUSED_PAD src0_sel:DWORD src1_sel:WORD_1
	v_fma_f16 v56, v60, v62, v56
	v_pack_b32_f16 v56, v61, v56
	ds_write2_b32 v72, v55, v56 offset0:100 offset1:125
	s_waitcnt lgkmcnt(1)
	v_lshrrev_b32_e32 v55, 16, v57
	s_waitcnt vmcnt(10)
	v_mul_f16_sdwa v56, v55, v63 dst_sel:DWORD dst_unused:UNUSED_PAD src0_sel:DWORD src1_sel:WORD_1
	v_fma_f16 v56, v57, v63, -v56
	v_mul_f16_sdwa v57, v57, v63 dst_sel:DWORD dst_unused:UNUSED_PAD src0_sel:DWORD src1_sel:WORD_1
	v_fma_f16 v55, v55, v63, v57
	v_lshrrev_b32_e32 v60, 16, v58
	v_pack_b32_f16 v57, v56, v55
	s_waitcnt vmcnt(9)
	v_mul_f16_sdwa v55, v60, v64 dst_sel:DWORD dst_unused:UNUSED_PAD src0_sel:DWORD src1_sel:WORD_1
	v_fma_f16 v61, v58, v64, -v55
	ds_read2_b32 v[55:56], v72 offset0:200 offset1:225
	v_mul_f16_sdwa v58, v58, v64 dst_sel:DWORD dst_unused:UNUSED_PAD src0_sel:DWORD src1_sel:WORD_1
	v_fma_f16 v58, v60, v64, v58
	v_pack_b32_f16 v58, v61, v58
	ds_write2_b32 v72, v57, v58 offset0:150 offset1:175
	s_waitcnt lgkmcnt(1)
	v_lshrrev_b32_e32 v57, 16, v55
	s_waitcnt vmcnt(8)
	v_mul_f16_sdwa v58, v57, v65 dst_sel:DWORD dst_unused:UNUSED_PAD src0_sel:DWORD src1_sel:WORD_1
	v_fma_f16 v58, v55, v65, -v58
	v_mul_f16_sdwa v55, v55, v65 dst_sel:DWORD dst_unused:UNUSED_PAD src0_sel:DWORD src1_sel:WORD_1
	v_lshrrev_b32_e32 v60, 16, v56
	v_fma_f16 v55, v57, v65, v55
	s_waitcnt vmcnt(7)
	v_mul_f16_sdwa v57, v60, v66 dst_sel:DWORD dst_unused:UNUSED_PAD src0_sel:DWORD src1_sel:WORD_1
	v_add_u32_e32 v61, 0x200, v72
	v_pack_b32_f16 v55, v58, v55
	v_fma_f16 v62, v56, v66, -v57
	ds_read2_b32 v[57:58], v61 offset0:122 offset1:147
	v_mul_f16_sdwa v56, v56, v66 dst_sel:DWORD dst_unused:UNUSED_PAD src0_sel:DWORD src1_sel:WORD_1
	v_fma_f16 v56, v60, v66, v56
	v_pack_b32_f16 v56, v62, v56
	ds_write2_b32 v72, v55, v56 offset0:200 offset1:225
	s_waitcnt lgkmcnt(1)
	v_lshrrev_b32_e32 v55, 16, v57
	s_waitcnt vmcnt(6)
	v_mul_f16_sdwa v56, v55, v67 dst_sel:DWORD dst_unused:UNUSED_PAD src0_sel:DWORD src1_sel:WORD_1
	v_fma_f16 v56, v57, v67, -v56
	v_mul_f16_sdwa v57, v57, v67 dst_sel:DWORD dst_unused:UNUSED_PAD src0_sel:DWORD src1_sel:WORD_1
	v_fma_f16 v55, v55, v67, v57
	v_lshrrev_b32_e32 v60, 16, v58
	v_pack_b32_f16 v57, v56, v55
	s_waitcnt vmcnt(5)
	v_mul_f16_sdwa v55, v60, v70 dst_sel:DWORD dst_unused:UNUSED_PAD src0_sel:DWORD src1_sel:WORD_1
	v_fma_f16 v62, v58, v70, -v55
	ds_read2_b32 v[55:56], v54 offset0:44 offset1:69
	v_mul_f16_sdwa v58, v58, v70 dst_sel:DWORD dst_unused:UNUSED_PAD src0_sel:DWORD src1_sel:WORD_1
	v_fma_f16 v58, v60, v70, v58
	v_pack_b32_f16 v58, v62, v58
	ds_write2_b32 v61, v57, v58 offset0:122 offset1:147
	s_waitcnt lgkmcnt(1)
	v_lshrrev_b32_e32 v57, 16, v55
	s_waitcnt vmcnt(4)
	v_mul_f16_sdwa v58, v57, v107 dst_sel:DWORD dst_unused:UNUSED_PAD src0_sel:DWORD src1_sel:WORD_1
	v_fma_f16 v58, v55, v107, -v58
	v_mul_f16_sdwa v55, v55, v107 dst_sel:DWORD dst_unused:UNUSED_PAD src0_sel:DWORD src1_sel:WORD_1
	v_lshrrev_b32_e32 v60, 16, v56
	v_fma_f16 v55, v57, v107, v55
	s_waitcnt vmcnt(3)
	v_mul_f16_sdwa v57, v60, v68 dst_sel:DWORD dst_unused:UNUSED_PAD src0_sel:DWORD src1_sel:WORD_1
	v_pack_b32_f16 v55, v58, v55
	v_fma_f16 v62, v56, v68, -v57
	ds_read2_b32 v[57:58], v54 offset0:94 offset1:119
	v_mul_f16_sdwa v56, v56, v68 dst_sel:DWORD dst_unused:UNUSED_PAD src0_sel:DWORD src1_sel:WORD_1
	v_fma_f16 v56, v60, v68, v56
	v_pack_b32_f16 v56, v62, v56
	ds_write2_b32 v54, v55, v56 offset0:44 offset1:69
	s_waitcnt lgkmcnt(1)
	v_lshrrev_b32_e32 v55, 16, v57
	s_waitcnt vmcnt(2)
	v_mul_f16_sdwa v56, v55, v69 dst_sel:DWORD dst_unused:UNUSED_PAD src0_sel:DWORD src1_sel:WORD_1
	v_fma_f16 v56, v57, v69, -v56
	v_mul_f16_sdwa v57, v57, v69 dst_sel:DWORD dst_unused:UNUSED_PAD src0_sel:DWORD src1_sel:WORD_1
	v_fma_f16 v55, v55, v69, v57
	v_pack_b32_f16 v55, v56, v55
	v_lshrrev_b32_e32 v56, 16, v58
	ds_read_b32 v60, v72 offset:1600
	s_waitcnt vmcnt(1)
	v_mul_f16_sdwa v57, v56, v59 dst_sel:DWORD dst_unused:UNUSED_PAD src0_sel:DWORD src1_sel:WORD_1
	v_fma_f16 v57, v58, v59, -v57
	v_mul_f16_sdwa v58, v58, v59 dst_sel:DWORD dst_unused:UNUSED_PAD src0_sel:DWORD src1_sel:WORD_1
	v_fma_f16 v56, v56, v59, v58
	v_pack_b32_f16 v56, v57, v56
	ds_write2_b32 v54, v55, v56 offset0:94 offset1:119
	s_waitcnt lgkmcnt(1)
	v_lshrrev_b32_e32 v55, 16, v60
	s_waitcnt vmcnt(0)
	v_mul_f16_sdwa v56, v55, v93 dst_sel:DWORD dst_unused:UNUSED_PAD src0_sel:DWORD src1_sel:WORD_1
	v_mul_f16_sdwa v57, v60, v93 dst_sel:DWORD dst_unused:UNUSED_PAD src0_sel:DWORD src1_sel:WORD_1
	v_fma_f16 v56, v60, v93, -v56
	v_fma_f16 v55, v55, v93, v57
	v_pack_b32_f16 v55, v56, v55
	ds_write_b32 v72, v55 offset:1600
	s_and_saveexec_b64 s[2:3], vcc
	s_cbranch_execz .LBB0_9
; %bb.8:
	v_mov_b32_e32 v56, s1
	v_add_co_u32_e64 v55, s[0:1], s0, v53
	v_addc_co_u32_e64 v56, s[0:1], 0, v56, s[0:1]
	global_load_dword v53, v[55:56], off offset:68
	global_load_dword v66, v[55:56], off offset:168
	;; [unrolled: 1-line block ×11, first 2 shown]
	ds_read_b32 v57, v91 offset:68
	global_load_dword v119, v[55:56], off offset:1168
	global_load_dword v120, v[55:56], off offset:1268
	;; [unrolled: 1-line block ×6, first 2 shown]
	s_waitcnt lgkmcnt(0)
	v_lshrrev_b32_e32 v55, 16, v57
	s_waitcnt vmcnt(16)
	v_mul_f16_sdwa v56, v55, v53 dst_sel:DWORD dst_unused:UNUSED_PAD src0_sel:DWORD src1_sel:WORD_1
	v_mul_f16_sdwa v58, v57, v53 dst_sel:DWORD dst_unused:UNUSED_PAD src0_sel:DWORD src1_sel:WORD_1
	v_fma_f16 v56, v57, v53, -v56
	v_fma_f16 v53, v55, v53, v58
	v_pack_b32_f16 v53, v56, v53
	ds_write_b32 v91, v53 offset:68
	ds_read2_b32 v[55:56], v72 offset0:42 offset1:67
	ds_read2_b32 v[57:58], v72 offset0:92 offset1:117
	;; [unrolled: 1-line block ×5, first 2 shown]
	s_waitcnt lgkmcnt(4)
	v_lshrrev_b32_e32 v53, 16, v55
	s_waitcnt vmcnt(15)
	v_mul_f16_sdwa v125, v55, v66 dst_sel:DWORD dst_unused:UNUSED_PAD src0_sel:DWORD src1_sel:WORD_1
	v_lshrrev_b32_e32 v126, 16, v56
	s_waitcnt vmcnt(14)
	v_mul_f16_sdwa v127, v56, v67 dst_sel:DWORD dst_unused:UNUSED_PAD src0_sel:DWORD src1_sel:WORD_1
	s_waitcnt lgkmcnt(3)
	v_lshrrev_b32_e32 v128, 16, v57
	s_waitcnt vmcnt(13)
	v_mul_f16_sdwa v129, v57, v68 dst_sel:DWORD dst_unused:UNUSED_PAD src0_sel:DWORD src1_sel:WORD_1
	v_lshrrev_b32_e32 v130, 16, v58
	s_waitcnt vmcnt(12)
	v_mul_f16_sdwa v131, v58, v69 dst_sel:DWORD dst_unused:UNUSED_PAD src0_sel:DWORD src1_sel:WORD_1
	s_waitcnt lgkmcnt(2)
	v_lshrrev_b32_e32 v132, 16, v59
	s_waitcnt vmcnt(11)
	v_mul_f16_sdwa v133, v59, v70 dst_sel:DWORD dst_unused:UNUSED_PAD src0_sel:DWORD src1_sel:WORD_1
	v_lshrrev_b32_e32 v134, 16, v60
	s_waitcnt vmcnt(10)
	v_mul_f16_sdwa v135, v60, v93 dst_sel:DWORD dst_unused:UNUSED_PAD src0_sel:DWORD src1_sel:WORD_1
	s_waitcnt lgkmcnt(1)
	v_lshrrev_b32_e32 v136, 16, v62
	s_waitcnt vmcnt(9)
	v_mul_f16_sdwa v137, v62, v107 dst_sel:DWORD dst_unused:UNUSED_PAD src0_sel:DWORD src1_sel:WORD_1
	v_lshrrev_b32_e32 v138, 16, v63
	v_mul_f16_sdwa v143, v53, v66 dst_sel:DWORD dst_unused:UNUSED_PAD src0_sel:DWORD src1_sel:WORD_1
	v_fma_f16 v53, v53, v66, v125
	v_mul_f16_sdwa v125, v126, v67 dst_sel:DWORD dst_unused:UNUSED_PAD src0_sel:DWORD src1_sel:WORD_1
	s_waitcnt vmcnt(8)
	v_mul_f16_sdwa v139, v63, v108 dst_sel:DWORD dst_unused:UNUSED_PAD src0_sel:DWORD src1_sel:WORD_1
	v_fma_f16 v126, v126, v67, v127
	v_mul_f16_sdwa v127, v128, v68 dst_sel:DWORD dst_unused:UNUSED_PAD src0_sel:DWORD src1_sel:WORD_1
	v_fma_f16 v128, v128, v68, v129
	v_mul_f16_sdwa v129, v130, v69 dst_sel:DWORD dst_unused:UNUSED_PAD src0_sel:DWORD src1_sel:WORD_1
	v_fma_f16 v130, v130, v69, v131
	v_mul_f16_sdwa v131, v132, v70 dst_sel:DWORD dst_unused:UNUSED_PAD src0_sel:DWORD src1_sel:WORD_1
	v_fma_f16 v132, v132, v70, v133
	v_mul_f16_sdwa v133, v134, v93 dst_sel:DWORD dst_unused:UNUSED_PAD src0_sel:DWORD src1_sel:WORD_1
	v_fma_f16 v134, v134, v93, v135
	v_mul_f16_sdwa v135, v136, v107 dst_sel:DWORD dst_unused:UNUSED_PAD src0_sel:DWORD src1_sel:WORD_1
	v_fma_f16 v136, v136, v107, v137
	v_mul_f16_sdwa v137, v138, v108 dst_sel:DWORD dst_unused:UNUSED_PAD src0_sel:DWORD src1_sel:WORD_1
	v_fma_f16 v55, v55, v66, -v143
	v_fma_f16 v56, v56, v67, -v125
	v_fma_f16 v138, v138, v108, v139
	v_fma_f16 v57, v57, v68, -v127
	v_fma_f16 v58, v58, v69, -v129
	;; [unrolled: 1-line block ×6, first 2 shown]
	v_pack_b32_f16 v53, v55, v53
	v_pack_b32_f16 v55, v56, v126
	;; [unrolled: 1-line block ×8, first 2 shown]
	ds_write2_b32 v72, v53, v55 offset0:42 offset1:67
	ds_write2_b32 v72, v56, v57 offset0:92 offset1:117
	;; [unrolled: 1-line block ×4, first 2 shown]
	ds_read2_b32 v[55:56], v54 offset0:36 offset1:61
	s_waitcnt lgkmcnt(5)
	v_lshrrev_b32_e32 v140, 16, v64
	s_waitcnt vmcnt(7)
	v_mul_f16_sdwa v141, v64, v117 dst_sel:DWORD dst_unused:UNUSED_PAD src0_sel:DWORD src1_sel:WORD_1
	v_lshrrev_b32_e32 v142, 16, v65
	v_mul_f16_sdwa v139, v140, v117 dst_sel:DWORD dst_unused:UNUSED_PAD src0_sel:DWORD src1_sel:WORD_1
	v_fma_f16 v140, v140, v117, v141
	s_waitcnt vmcnt(6)
	v_mul_f16_sdwa v141, v142, v118 dst_sel:DWORD dst_unused:UNUSED_PAD src0_sel:DWORD src1_sel:WORD_1
	v_mul_f16_sdwa v53, v65, v118 dst_sel:DWORD dst_unused:UNUSED_PAD src0_sel:DWORD src1_sel:WORD_1
	v_fma_f16 v64, v64, v117, -v139
	v_fma_f16 v66, v65, v118, -v141
	v_fma_f16 v53, v142, v118, v53
	v_pack_b32_f16 v63, v64, v140
	v_pack_b32_f16 v53, v66, v53
	ds_write2_b32 v61, v63, v53 offset0:114 offset1:139
	s_waitcnt lgkmcnt(1)
	v_lshrrev_b32_e32 v53, 16, v55
	s_waitcnt vmcnt(5)
	v_mul_f16_sdwa v57, v53, v119 dst_sel:DWORD dst_unused:UNUSED_PAD src0_sel:DWORD src1_sel:WORD_1
	v_fma_f16 v57, v55, v119, -v57
	v_mul_f16_sdwa v55, v55, v119 dst_sel:DWORD dst_unused:UNUSED_PAD src0_sel:DWORD src1_sel:WORD_1
	v_fma_f16 v53, v53, v119, v55
	v_lshrrev_b32_e32 v55, 16, v56
	v_pack_b32_f16 v53, v57, v53
	s_waitcnt vmcnt(4)
	v_mul_f16_sdwa v57, v55, v120 dst_sel:DWORD dst_unused:UNUSED_PAD src0_sel:DWORD src1_sel:WORD_1
	v_fma_f16 v59, v56, v120, -v57
	ds_read2_b32 v[57:58], v54 offset0:86 offset1:111
	v_mul_f16_sdwa v56, v56, v120 dst_sel:DWORD dst_unused:UNUSED_PAD src0_sel:DWORD src1_sel:WORD_1
	v_fma_f16 v55, v55, v120, v56
	v_pack_b32_f16 v55, v59, v55
	ds_write2_b32 v54, v53, v55 offset0:36 offset1:61
	s_waitcnt lgkmcnt(1)
	v_lshrrev_b32_e32 v53, 16, v57
	s_waitcnt vmcnt(3)
	v_mul_f16_sdwa v55, v53, v121 dst_sel:DWORD dst_unused:UNUSED_PAD src0_sel:DWORD src1_sel:WORD_1
	v_mul_f16_sdwa v56, v57, v121 dst_sel:DWORD dst_unused:UNUSED_PAD src0_sel:DWORD src1_sel:WORD_1
	v_fma_f16 v55, v57, v121, -v55
	v_fma_f16 v53, v53, v121, v56
	v_lshrrev_b32_e32 v57, 16, v58
	v_pack_b32_f16 v53, v55, v53
	s_waitcnt vmcnt(2)
	v_mul_f16_sdwa v55, v57, v122 dst_sel:DWORD dst_unused:UNUSED_PAD src0_sel:DWORD src1_sel:WORD_1
	v_fma_f16 v59, v58, v122, -v55
	ds_read2_b32 v[55:56], v54 offset0:136 offset1:161
	v_mul_f16_sdwa v58, v58, v122 dst_sel:DWORD dst_unused:UNUSED_PAD src0_sel:DWORD src1_sel:WORD_1
	v_fma_f16 v57, v57, v122, v58
	v_pack_b32_f16 v57, v59, v57
	ds_write2_b32 v54, v53, v57 offset0:86 offset1:111
	s_waitcnt lgkmcnt(1)
	v_lshrrev_b32_e32 v53, 16, v55
	s_waitcnt vmcnt(1)
	v_mul_f16_sdwa v57, v53, v123 dst_sel:DWORD dst_unused:UNUSED_PAD src0_sel:DWORD src1_sel:WORD_1
	v_fma_f16 v57, v55, v123, -v57
	v_mul_f16_sdwa v55, v55, v123 dst_sel:DWORD dst_unused:UNUSED_PAD src0_sel:DWORD src1_sel:WORD_1
	v_fma_f16 v53, v53, v123, v55
	v_lshrrev_b32_e32 v55, 16, v56
	v_pack_b32_f16 v53, v57, v53
	s_waitcnt vmcnt(0)
	v_mul_f16_sdwa v57, v55, v124 dst_sel:DWORD dst_unused:UNUSED_PAD src0_sel:DWORD src1_sel:WORD_1
	v_fma_f16 v57, v56, v124, -v57
	v_mul_f16_sdwa v56, v56, v124 dst_sel:DWORD dst_unused:UNUSED_PAD src0_sel:DWORD src1_sel:WORD_1
	v_fma_f16 v55, v55, v124, v56
	v_pack_b32_f16 v55, v57, v55
	ds_write2_b32 v54, v53, v55 offset0:136 offset1:161
.LBB0_9:
	s_or_b64 exec, exec, s[2:3]
	s_waitcnt lgkmcnt(0)
	; wave barrier
	s_waitcnt lgkmcnt(0)
	ds_read2_b32 v[55:56], v72 offset1:25
	ds_read2_b32 v[67:68], v72 offset0:50 offset1:75
	ds_read2_b32 v[63:64], v72 offset0:100 offset1:125
	;; [unrolled: 1-line block ×7, first 2 shown]
	ds_read_b32 v117, v72 offset:1600
	v_lshrrev_b32_e32 v54, 16, v102
	s_and_saveexec_b64 s[0:1], vcc
	s_cbranch_execz .LBB0_11
; %bb.10:
	v_add_u32_e32 v39, 0x400, v91
	ds_read2_b32 v[45:46], v91 offset0:17 offset1:42
	ds_read2_b32 v[47:48], v91 offset0:67 offset1:92
	;; [unrolled: 1-line block ×7, first 2 shown]
	ds_read_b32 v100, v91 offset:1668
	s_waitcnt lgkmcnt(4)
	v_lshrrev_b32_e32 v40, 16, v43
	buffer_store_dword v40, off, s[40:43], 0 offset:4 ; 4-byte Folded Spill
	ds_read2_b32 v[39:40], v39 offset0:111 offset1:136
	s_mov_b32 s2, 0xffff
	v_lshrrev_b32_e32 v109, 16, v45
	v_lshrrev_b32_e32 v111, 16, v46
	;; [unrolled: 1-line block ×6, first 2 shown]
	s_waitcnt lgkmcnt(4)
	v_lshrrev_b32_e32 v116, 16, v51
	v_lshrrev_b32_e32 v115, 16, v52
	s_waitcnt lgkmcnt(3)
	v_lshrrev_b32_e32 v102, 16, v53
	v_lshrrev_b32_e32 v103, 16, v54
	;; [unrolled: 1-line block ×3, first 2 shown]
	s_waitcnt lgkmcnt(2)
	v_lshrrev_b32_e32 v96, 16, v41
	v_lshrrev_b32_e32 v99, 16, v42
	s_waitcnt lgkmcnt(0)
	v_lshrrev_b32_e32 v97, 16, v39
	v_lshrrev_b32_e32 v94, 16, v40
	v_bfi_b32 v101, s2, v53, v100
.LBB0_11:
	s_or_b64 exec, exec, s[0:1]
	s_waitcnt lgkmcnt(8)
	v_pk_add_f16 v93, v55, v56
	s_waitcnt lgkmcnt(7)
	v_pk_add_f16 v93, v93, v67
	v_pk_add_f16 v93, v93, v68
	s_waitcnt lgkmcnt(6)
	v_pk_add_f16 v93, v93, v63
	v_pk_add_f16 v93, v93, v64
	s_waitcnt lgkmcnt(5)
	v_pk_add_f16 v93, v93, v59
	v_pk_add_f16 v93, v93, v60
	s_waitcnt lgkmcnt(4)
	v_pk_add_f16 v93, v93, v57
	v_pk_add_f16 v93, v93, v58
	s_waitcnt lgkmcnt(3)
	v_pk_add_f16 v93, v93, v61
	v_pk_add_f16 v93, v93, v62
	s_waitcnt lgkmcnt(2)
	v_pk_add_f16 v93, v93, v65
	v_pk_add_f16 v93, v93, v66
	s_waitcnt lgkmcnt(1)
	v_pk_add_f16 v93, v93, v69
	v_pk_add_f16 v93, v93, v70
	s_waitcnt lgkmcnt(0)
	v_pk_add_f16 v118, v56, v117 neg_lo:[0,1] neg_hi:[0,1]
	s_mov_b32 s4, 0xb5c8
	v_pk_add_f16 v120, v93, v117
	v_pk_add_f16 v119, v117, v56
	v_pk_mul_f16 v93, v118, s4 op_sel_hi:[1,0]
	s_movk_i32 s2, 0x3b76
	s_mov_b32 s12, 0xb964
	v_pk_add_f16 v146, v67, v70 neg_lo:[0,1] neg_hi:[0,1]
	v_pk_fma_f16 v56, v119, s2, v93 op_sel:[0,0,1] op_sel_hi:[1,0,0]
	v_pk_fma_f16 v117, v119, s2, v93 op_sel:[0,0,1] op_sel_hi:[1,0,0] neg_lo:[0,0,1] neg_hi:[0,0,1]
	s_mov_b32 s0, 0xffff
	s_movk_i32 s3, 0x39e9
	v_pk_add_f16 v145, v70, v67
	v_pk_mul_f16 v70, v146, s12 op_sel_hi:[1,0]
	v_bfi_b32 v93, s0, v56, v117
	v_pk_fma_f16 v67, v145, s3, v70 op_sel:[0,0,1] op_sel_hi:[1,0,0]
	v_pk_fma_f16 v70, v145, s3, v70 op_sel:[0,0,1] op_sel_hi:[1,0,0] neg_lo:[0,0,1] neg_hi:[0,0,1]
	v_pk_add_f16 v93, v55, v93
	v_mul_f16_sdwa v121, v118, s12 dst_sel:DWORD dst_unused:UNUSED_PAD src0_sel:WORD_1 src1_sel:DWORD
	s_mov_b32 s16, 0xbbf7
	v_bfi_b32 v147, s0, v67, v70
	v_fma_f16 v122, v119, s3, v121
	s_movk_i32 s13, 0x2de8
	v_pk_add_f16 v93, v147, v93
	v_mul_f16_sdwa v147, v146, s16 dst_sel:DWORD dst_unused:UNUSED_PAD src0_sel:WORD_1 src1_sel:DWORD
	v_add_f16_e32 v122, v55, v122
	v_mul_f16_sdwa v123, v119, s3 dst_sel:DWORD dst_unused:UNUSED_PAD src0_sel:WORD_1 src1_sel:DWORD
	s_movk_i32 s23, 0x3964
	v_fma_f16 v121, v119, s3, -v121
	v_fma_f16 v148, v145, s13, v147
	v_fma_f16 v124, v118, s23, v123
	v_add_f16_e32 v121, v55, v121
	v_fma_f16 v123, v118, s12, v123
	s_mov_b32 s14, 0xbb29
	v_add_f16_e32 v122, v148, v122
	v_mul_f16_sdwa v148, v145, s13 dst_sel:DWORD dst_unused:UNUSED_PAD src0_sel:WORD_1 src1_sel:DWORD
	v_fma_f16 v147, v145, s13, -v147
	v_add_f16_sdwa v123, v55, v123 dst_sel:DWORD dst_unused:UNUSED_PAD src0_sel:WORD_1 src1_sel:DWORD
	v_mul_f16_sdwa v125, v118, s14 dst_sel:DWORD dst_unused:UNUSED_PAD src0_sel:WORD_1 src1_sel:DWORD
	s_movk_i32 s5, 0x3722
	s_mov_b32 s21, 0xba62
	v_add_f16_e32 v121, v147, v121
	v_fma_f16 v147, v146, s16, v148
	v_fma_f16 v126, v119, s5, v125
	s_movk_i32 s29, 0x3bf7
	s_mov_b32 s17, 0xb8d2
	v_add_f16_e32 v123, v147, v123
	v_mul_f16_sdwa v147, v146, s21 dst_sel:DWORD dst_unused:UNUSED_PAD src0_sel:WORD_1 src1_sel:DWORD
	v_add_f16_e32 v126, v55, v126
	v_mul_f16_sdwa v127, v119, s5 dst_sel:DWORD dst_unused:UNUSED_PAD src0_sel:WORD_1 src1_sel:DWORD
	s_movk_i32 s19, 0x3b29
	v_fma_f16 v125, v119, s5, -v125
	v_fma_f16 v149, v146, s29, v148
	v_fma_f16 v148, v145, s17, v147
	;; [unrolled: 1-line block ×3, first 2 shown]
	v_add_f16_e32 v125, v55, v125
	v_fma_f16 v127, v118, s14, v127
	v_add_f16_e32 v126, v148, v126
	v_mul_f16_sdwa v148, v145, s17 dst_sel:DWORD dst_unused:UNUSED_PAD src0_sel:WORD_1 src1_sel:DWORD
	v_fma_f16 v147, v145, s17, -v147
	v_add_f16_sdwa v127, v55, v127 dst_sel:DWORD dst_unused:UNUSED_PAD src0_sel:WORD_1 src1_sel:DWORD
	v_mul_f16_sdwa v129, v118, s16 dst_sel:DWORD dst_unused:UNUSED_PAD src0_sel:WORD_1 src1_sel:DWORD
	v_add_f16_e32 v125, v147, v125
	v_fma_f16 v147, v146, s21, v148
	s_mov_b32 s26, 0xb1e1
	v_add_f16_sdwa v124, v55, v124 dst_sel:DWORD dst_unused:UNUSED_PAD src0_sel:WORD_1 src1_sel:DWORD
	v_fma_f16 v130, v119, s13, v129
	s_movk_i32 s28, 0x3a62
	v_add_f16_e32 v127, v147, v127
	v_mul_f16_sdwa v147, v146, s26 dst_sel:DWORD dst_unused:UNUSED_PAD src0_sel:WORD_1 src1_sel:DWORD
	s_mov_b32 s25, 0xbbdd
	v_add_f16_e32 v130, v55, v130
	v_mul_f16_sdwa v131, v119, s13 dst_sel:DWORD dst_unused:UNUSED_PAD src0_sel:WORD_1 src1_sel:DWORD
	v_fma_f16 v129, v119, s13, -v129
	v_add_f16_e32 v124, v149, v124
	v_fma_f16 v149, v146, s28, v148
	v_fma_f16 v148, v145, s25, v147
	;; [unrolled: 1-line block ×3, first 2 shown]
	v_add_f16_e32 v129, v55, v129
	v_fma_f16 v131, v118, s16, v131
	s_mov_b32 s18, 0xbbb2
	v_add_f16_e32 v130, v148, v130
	v_mul_f16_sdwa v148, v145, s25 dst_sel:DWORD dst_unused:UNUSED_PAD src0_sel:WORD_1 src1_sel:DWORD
	v_fma_f16 v147, v145, s25, -v147
	v_add_f16_sdwa v131, v55, v131 dst_sel:DWORD dst_unused:UNUSED_PAD src0_sel:WORD_1 src1_sel:DWORD
	v_mul_f16_sdwa v133, v118, s18 dst_sel:DWORD dst_unused:UNUSED_PAD src0_sel:WORD_1 src1_sel:DWORD
	s_mov_b32 s15, 0xb461
	s_movk_i32 s27, 0x3836
	v_add_f16_e32 v129, v147, v129
	v_fma_f16 v147, v146, s26, v148
	v_add_f16_sdwa v128, v55, v128 dst_sel:DWORD dst_unused:UNUSED_PAD src0_sel:WORD_1 src1_sel:DWORD
	v_fma_f16 v134, v119, s15, v133
	s_mov_b32 s20, 0xbacd
	s_movk_i32 s30, 0x31e1
	v_add_f16_e32 v131, v147, v131
	v_mul_f16_sdwa v147, v146, s27 dst_sel:DWORD dst_unused:UNUSED_PAD src0_sel:WORD_1 src1_sel:DWORD
	v_add_f16_e32 v134, v55, v134
	v_mul_f16_sdwa v135, v119, s15 dst_sel:DWORD dst_unused:UNUSED_PAD src0_sel:WORD_1 src1_sel:DWORD
	s_movk_i32 s24, 0x3bb2
	v_fma_f16 v133, v119, s15, -v133
	v_add_f16_e32 v128, v149, v128
	v_fma_f16 v149, v146, s30, v148
	v_fma_f16 v148, v145, s20, v147
	;; [unrolled: 1-line block ×3, first 2 shown]
	v_add_f16_e32 v133, v55, v133
	v_fma_f16 v135, v118, s18, v135
	v_add_f16_e32 v134, v148, v134
	v_mul_f16_sdwa v148, v145, s20 dst_sel:DWORD dst_unused:UNUSED_PAD src0_sel:WORD_1 src1_sel:DWORD
	v_fma_f16 v147, v145, s20, -v147
	v_add_f16_sdwa v135, v55, v135 dst_sel:DWORD dst_unused:UNUSED_PAD src0_sel:WORD_1 src1_sel:DWORD
	v_mul_f16_sdwa v137, v118, s21 dst_sel:DWORD dst_unused:UNUSED_PAD src0_sel:WORD_1 src1_sel:DWORD
	v_add_f16_e32 v133, v147, v133
	v_fma_f16 v147, v146, s27, v148
	v_add_f16_sdwa v132, v55, v132 dst_sel:DWORD dst_unused:UNUSED_PAD src0_sel:WORD_1 src1_sel:DWORD
	v_fma_f16 v138, v119, s17, v137
	s_mov_b32 s22, 0xb836
	v_add_f16_e32 v135, v147, v135
	v_mul_f16_sdwa v147, v146, s24 dst_sel:DWORD dst_unused:UNUSED_PAD src0_sel:WORD_1 src1_sel:DWORD
	v_add_f16_e32 v138, v55, v138
	v_mul_f16_sdwa v139, v119, s17 dst_sel:DWORD dst_unused:UNUSED_PAD src0_sel:WORD_1 src1_sel:DWORD
	v_fma_f16 v137, v119, s17, -v137
	v_add_f16_e32 v132, v149, v132
	v_fma_f16 v149, v146, s22, v148
	v_fma_f16 v148, v145, s15, v147
	v_fma_f16 v140, v118, s28, v139
	v_add_f16_e32 v137, v55, v137
	v_fma_f16 v139, v118, s21, v139
	v_add_f16_e32 v138, v148, v138
	v_mul_f16_sdwa v148, v145, s15 dst_sel:DWORD dst_unused:UNUSED_PAD src0_sel:WORD_1 src1_sel:DWORD
	v_fma_f16 v147, v145, s15, -v147
	v_add_f16_sdwa v139, v55, v139 dst_sel:DWORD dst_unused:UNUSED_PAD src0_sel:WORD_1 src1_sel:DWORD
	v_mul_f16_sdwa v141, v118, s22 dst_sel:DWORD dst_unused:UNUSED_PAD src0_sel:WORD_1 src1_sel:DWORD
	v_add_f16_e32 v137, v147, v137
	v_fma_f16 v147, v146, s24, v148
	v_add_f16_sdwa v136, v55, v136 dst_sel:DWORD dst_unused:UNUSED_PAD src0_sel:WORD_1 src1_sel:DWORD
	v_fma_f16 v142, v119, s20, v141
	v_add_f16_e32 v139, v147, v139
	v_mul_f16_sdwa v147, v146, s19 dst_sel:DWORD dst_unused:UNUSED_PAD src0_sel:WORD_1 src1_sel:DWORD
	v_add_f16_e32 v142, v55, v142
	v_mul_f16_sdwa v143, v119, s20 dst_sel:DWORD dst_unused:UNUSED_PAD src0_sel:WORD_1 src1_sel:DWORD
	v_fma_f16 v141, v119, s20, -v141
	v_add_f16_e32 v136, v149, v136
	v_fma_f16 v149, v146, s18, v148
	v_fma_f16 v148, v145, s5, v147
	;; [unrolled: 1-line block ×3, first 2 shown]
	v_add_f16_e32 v141, v55, v141
	v_fma_f16 v143, v118, s22, v143
	v_add_f16_e32 v142, v148, v142
	v_mul_f16_sdwa v148, v145, s5 dst_sel:DWORD dst_unused:UNUSED_PAD src0_sel:WORD_1 src1_sel:DWORD
	v_fma_f16 v147, v145, s5, -v147
	v_add_f16_sdwa v143, v55, v143 dst_sel:DWORD dst_unused:UNUSED_PAD src0_sel:WORD_1 src1_sel:DWORD
	v_add_f16_e32 v141, v147, v141
	v_fma_f16 v147, v146, s19, v148
	v_add_f16_e32 v143, v147, v143
	v_pk_add_f16 v147, v69, v68
	v_pk_add_f16 v68, v68, v69 neg_lo:[0,1] neg_hi:[0,1]
	v_add_f16_sdwa v140, v55, v140 dst_sel:DWORD dst_unused:UNUSED_PAD src0_sel:WORD_1 src1_sel:DWORD
	v_pk_mul_f16 v69, v68, s14 op_sel_hi:[1,0]
	v_add_f16_sdwa v144, v55, v144 dst_sel:DWORD dst_unused:UNUSED_PAD src0_sel:WORD_1 src1_sel:DWORD
	v_add_f16_e32 v140, v149, v140
	v_fma_f16 v149, v146, s14, v148
	v_pk_fma_f16 v148, v147, s5, v69 op_sel:[0,0,1] op_sel_hi:[1,0,0]
	v_pk_fma_f16 v69, v147, s5, v69 op_sel:[0,0,1] op_sel_hi:[1,0,0] neg_lo:[0,0,1] neg_hi:[0,0,1]
	v_add_f16_e32 v144, v149, v144
	v_bfi_b32 v149, s0, v148, v69
	v_pk_add_f16 v93, v149, v93
	v_mul_f16_sdwa v149, v68, s21 dst_sel:DWORD dst_unused:UNUSED_PAD src0_sel:WORD_1 src1_sel:DWORD
	v_fma_f16 v150, v147, s17, v149
	v_add_f16_e32 v122, v150, v122
	v_mul_f16_sdwa v150, v147, s17 dst_sel:DWORD dst_unused:UNUSED_PAD src0_sel:WORD_1 src1_sel:DWORD
	v_fma_f16 v149, v147, s17, -v149
	v_add_f16_e32 v121, v149, v121
	v_fma_f16 v149, v68, s21, v150
	v_add_f16_e32 v123, v149, v123
	v_mul_f16_sdwa v149, v68, s30 dst_sel:DWORD dst_unused:UNUSED_PAD src0_sel:WORD_1 src1_sel:DWORD
	v_fma_f16 v151, v68, s28, v150
	v_fma_f16 v150, v147, s25, v149
	v_add_f16_e32 v126, v150, v126
	v_mul_f16_sdwa v150, v147, s25 dst_sel:DWORD dst_unused:UNUSED_PAD src0_sel:WORD_1 src1_sel:DWORD
	v_fma_f16 v149, v147, s25, -v149
	v_add_f16_e32 v125, v149, v125
	v_fma_f16 v149, v68, s30, v150
	v_add_f16_e32 v127, v149, v127
	v_mul_f16_sdwa v149, v68, s24 dst_sel:DWORD dst_unused:UNUSED_PAD src0_sel:WORD_1 src1_sel:DWORD
	v_add_f16_e32 v124, v151, v124
	v_fma_f16 v151, v68, s26, v150
	v_fma_f16 v150, v147, s15, v149
	v_add_f16_e32 v130, v150, v130
	v_mul_f16_sdwa v150, v147, s15 dst_sel:DWORD dst_unused:UNUSED_PAD src0_sel:WORD_1 src1_sel:DWORD
	v_fma_f16 v149, v147, s15, -v149
	v_add_f16_e32 v129, v149, v129
	v_fma_f16 v149, v68, s24, v150
	v_add_f16_e32 v131, v149, v131
	v_mul_f16_sdwa v149, v68, s23 dst_sel:DWORD dst_unused:UNUSED_PAD src0_sel:WORD_1 src1_sel:DWORD
	v_add_f16_e32 v128, v151, v128
	;; [unrolled: 10-line block ×3, first 2 shown]
	v_fma_f16 v151, v68, s12, v150
	v_fma_f16 v150, v147, s2, v149
	v_add_f16_e32 v138, v150, v138
	v_mul_f16_sdwa v150, v147, s2 dst_sel:DWORD dst_unused:UNUSED_PAD src0_sel:WORD_1 src1_sel:DWORD
	v_fma_f16 v149, v147, s2, -v149
	v_add_f16_e32 v137, v149, v137
	v_fma_f16 v149, v68, s4, v150
	s_movk_i32 s31, 0x35c8
	v_add_f16_e32 v139, v149, v139
	v_mul_f16_sdwa v149, v68, s16 dst_sel:DWORD dst_unused:UNUSED_PAD src0_sel:WORD_1 src1_sel:DWORD
	v_add_f16_e32 v136, v151, v136
	v_fma_f16 v151, v68, s31, v150
	v_fma_f16 v150, v147, s13, v149
	v_add_f16_e32 v142, v150, v142
	v_mul_f16_sdwa v150, v147, s13 dst_sel:DWORD dst_unused:UNUSED_PAD src0_sel:WORD_1 src1_sel:DWORD
	v_fma_f16 v149, v147, s13, -v149
	v_add_f16_e32 v141, v149, v141
	v_fma_f16 v149, v68, s16, v150
	v_add_f16_e32 v143, v149, v143
	v_pk_add_f16 v149, v66, v63
	v_pk_add_f16 v63, v63, v66 neg_lo:[0,1] neg_hi:[0,1]
	v_pk_mul_f16 v66, v63, s16 op_sel_hi:[1,0]
	v_add_f16_e32 v140, v151, v140
	v_fma_f16 v151, v68, s29, v150
	v_pk_fma_f16 v150, v149, s13, v66 op_sel:[0,0,1] op_sel_hi:[1,0,0]
	v_pk_fma_f16 v66, v149, s13, v66 op_sel:[0,0,1] op_sel_hi:[1,0,0] neg_lo:[0,0,1] neg_hi:[0,0,1]
	v_add_f16_e32 v144, v151, v144
	v_bfi_b32 v151, s0, v150, v66
	v_pk_add_f16 v93, v151, v93
	v_mul_f16_sdwa v151, v63, s26 dst_sel:DWORD dst_unused:UNUSED_PAD src0_sel:WORD_1 src1_sel:DWORD
	v_fma_f16 v152, v149, s25, v151
	v_add_f16_e32 v122, v152, v122
	v_mul_f16_sdwa v152, v149, s25 dst_sel:DWORD dst_unused:UNUSED_PAD src0_sel:WORD_1 src1_sel:DWORD
	v_fma_f16 v151, v149, s25, -v151
	v_add_f16_e32 v121, v151, v121
	v_fma_f16 v151, v63, s26, v152
	v_add_f16_e32 v123, v151, v123
	v_mul_f16_sdwa v151, v63, s24 dst_sel:DWORD dst_unused:UNUSED_PAD src0_sel:WORD_1 src1_sel:DWORD
	v_fma_f16 v153, v63, s30, v152
	v_fma_f16 v152, v149, s15, v151
	v_add_f16_e32 v126, v152, v126
	v_mul_f16_sdwa v152, v149, s15 dst_sel:DWORD dst_unused:UNUSED_PAD src0_sel:WORD_1 src1_sel:DWORD
	v_fma_f16 v151, v149, s15, -v151
	v_add_f16_e32 v125, v151, v125
	v_fma_f16 v151, v63, s24, v152
	v_add_f16_e32 v127, v151, v127
	v_mul_f16_sdwa v151, v63, s31 dst_sel:DWORD dst_unused:UNUSED_PAD src0_sel:WORD_1 src1_sel:DWORD
	v_add_f16_e32 v124, v153, v124
	v_fma_f16 v153, v63, s18, v152
	v_fma_f16 v152, v149, s2, v151
	v_add_f16_e32 v130, v152, v130
	v_mul_f16_sdwa v152, v149, s2 dst_sel:DWORD dst_unused:UNUSED_PAD src0_sel:WORD_1 src1_sel:DWORD
	v_fma_f16 v151, v149, s2, -v151
	v_add_f16_e32 v129, v151, v129
	v_fma_f16 v151, v63, s31, v152
	v_add_f16_e32 v131, v151, v131
	v_mul_f16_sdwa v151, v63, s14 dst_sel:DWORD dst_unused:UNUSED_PAD src0_sel:WORD_1 src1_sel:DWORD
	v_add_f16_e32 v128, v153, v128
	;; [unrolled: 10-line block ×4, first 2 shown]
	v_fma_f16 v153, v63, s27, v152
	v_fma_f16 v152, v149, s17, v151
	v_add_f16_e32 v142, v152, v142
	v_mul_f16_sdwa v152, v149, s17 dst_sel:DWORD dst_unused:UNUSED_PAD src0_sel:WORD_1 src1_sel:DWORD
	v_fma_f16 v151, v149, s17, -v151
	v_add_f16_e32 v141, v151, v141
	v_fma_f16 v151, v63, s28, v152
	v_add_f16_e32 v143, v151, v143
	v_pk_add_f16 v151, v65, v64
	v_pk_add_f16 v64, v64, v65 neg_lo:[0,1] neg_hi:[0,1]
	v_pk_mul_f16 v65, v64, s18 op_sel_hi:[1,0]
	v_add_f16_e32 v140, v153, v140
	v_fma_f16 v153, v63, s21, v152
	v_pk_fma_f16 v152, v151, s15, v65 op_sel:[0,0,1] op_sel_hi:[1,0,0]
	v_pk_fma_f16 v65, v151, s15, v65 op_sel:[0,0,1] op_sel_hi:[1,0,0] neg_lo:[0,0,1] neg_hi:[0,0,1]
	v_add_f16_e32 v144, v153, v144
	v_bfi_b32 v153, s0, v152, v65
	v_pk_add_f16 v93, v153, v93
	v_mul_f16_sdwa v153, v64, s27 dst_sel:DWORD dst_unused:UNUSED_PAD src0_sel:WORD_1 src1_sel:DWORD
	v_fma_f16 v154, v151, s20, v153
	v_add_f16_e32 v122, v154, v122
	v_mul_f16_sdwa v154, v151, s20 dst_sel:DWORD dst_unused:UNUSED_PAD src0_sel:WORD_1 src1_sel:DWORD
	v_fma_f16 v153, v151, s20, -v153
	v_add_f16_e32 v121, v153, v121
	v_fma_f16 v153, v64, s27, v154
	v_add_f16_e32 v123, v153, v123
	v_mul_f16_sdwa v153, v64, s23 dst_sel:DWORD dst_unused:UNUSED_PAD src0_sel:WORD_1 src1_sel:DWORD
	v_fma_f16 v155, v64, s22, v154
	v_fma_f16 v154, v151, s3, v153
	v_add_f16_e32 v126, v154, v126
	v_mul_f16_sdwa v154, v151, s3 dst_sel:DWORD dst_unused:UNUSED_PAD src0_sel:WORD_1 src1_sel:DWORD
	v_fma_f16 v153, v151, s3, -v153
	v_add_f16_e32 v125, v153, v125
	v_fma_f16 v153, v64, s23, v154
	v_add_f16_e32 v127, v153, v127
	v_mul_f16_sdwa v153, v64, s14 dst_sel:DWORD dst_unused:UNUSED_PAD src0_sel:WORD_1 src1_sel:DWORD
	v_add_f16_e32 v124, v155, v124
	v_fma_f16 v155, v64, s12, v154
	v_fma_f16 v154, v151, s5, v153
	v_add_f16_e32 v130, v154, v130
	v_mul_f16_sdwa v154, v151, s5 dst_sel:DWORD dst_unused:UNUSED_PAD src0_sel:WORD_1 src1_sel:DWORD
	v_fma_f16 v153, v151, s5, -v153
	v_add_f16_e32 v129, v153, v129
	v_fma_f16 v153, v64, s14, v154
	v_add_f16_e32 v131, v153, v131
	v_mul_f16_sdwa v153, v64, s26 dst_sel:DWORD dst_unused:UNUSED_PAD src0_sel:WORD_1 src1_sel:DWORD
	v_add_f16_e32 v128, v155, v128
	;; [unrolled: 10-line block ×4, first 2 shown]
	v_fma_f16 v155, v64, s16, v154
	v_fma_f16 v154, v151, s2, v153
	v_add_f16_e32 v142, v154, v142
	v_mul_f16_sdwa v154, v151, s2 dst_sel:DWORD dst_unused:UNUSED_PAD src0_sel:WORD_1 src1_sel:DWORD
	v_fma_f16 v153, v151, s2, -v153
	v_add_f16_e32 v141, v153, v141
	v_fma_f16 v153, v64, s4, v154
	v_add_f16_e32 v143, v153, v143
	v_pk_add_f16 v153, v62, v59
	v_pk_add_f16 v59, v59, v62 neg_lo:[0,1] neg_hi:[0,1]
	v_pk_mul_f16 v62, v59, s21 op_sel_hi:[1,0]
	v_add_f16_e32 v140, v155, v140
	v_fma_f16 v155, v64, s31, v154
	v_pk_fma_f16 v154, v153, s17, v62 op_sel:[0,0,1] op_sel_hi:[1,0,0]
	v_pk_fma_f16 v62, v153, s17, v62 op_sel:[0,0,1] op_sel_hi:[1,0,0] neg_lo:[0,0,1] neg_hi:[0,0,1]
	v_add_f16_e32 v144, v155, v144
	v_bfi_b32 v155, s0, v154, v62
	v_pk_add_f16 v93, v155, v93
	v_mul_f16_sdwa v155, v59, s24 dst_sel:DWORD dst_unused:UNUSED_PAD src0_sel:WORD_1 src1_sel:DWORD
	v_fma_f16 v156, v153, s15, v155
	v_add_f16_e32 v122, v156, v122
	v_mul_f16_sdwa v156, v153, s15 dst_sel:DWORD dst_unused:UNUSED_PAD src0_sel:WORD_1 src1_sel:DWORD
	v_fma_f16 v155, v153, s15, -v155
	v_add_f16_e32 v121, v155, v121
	v_fma_f16 v155, v59, s24, v156
	v_add_f16_e32 v123, v155, v123
	v_mul_f16_sdwa v155, v59, s4 dst_sel:DWORD dst_unused:UNUSED_PAD src0_sel:WORD_1 src1_sel:DWORD
	v_fma_f16 v157, v59, s18, v156
	v_fma_f16 v156, v153, s2, v155
	v_add_f16_e32 v126, v156, v126
	v_mul_f16_sdwa v156, v153, s2 dst_sel:DWORD dst_unused:UNUSED_PAD src0_sel:WORD_1 src1_sel:DWORD
	v_fma_f16 v155, v153, s2, -v155
	v_add_f16_e32 v125, v155, v125
	v_fma_f16 v155, v59, s4, v156
	v_add_f16_e32 v127, v155, v127
	v_mul_f16_sdwa v155, v59, s22 dst_sel:DWORD dst_unused:UNUSED_PAD src0_sel:WORD_1 src1_sel:DWORD
	v_add_f16_e32 v124, v157, v124
	v_fma_f16 v157, v59, s31, v156
	v_fma_f16 v156, v153, s20, v155
	v_add_f16_e32 v130, v156, v130
	v_mul_f16_sdwa v156, v153, s20 dst_sel:DWORD dst_unused:UNUSED_PAD src0_sel:WORD_1 src1_sel:DWORD
	v_fma_f16 v155, v153, s20, -v155
	v_add_f16_e32 v129, v155, v129
	v_fma_f16 v155, v59, s22, v156
	v_add_f16_e32 v131, v155, v131
	v_mul_f16_sdwa v155, v59, s29 dst_sel:DWORD dst_unused:UNUSED_PAD src0_sel:WORD_1 src1_sel:DWORD
	v_add_f16_e32 v128, v157, v128
	;; [unrolled: 10-line block ×4, first 2 shown]
	v_fma_f16 v157, v59, s23, v156
	v_fma_f16 v156, v153, s25, v155
	v_add_f16_e32 v142, v156, v142
	v_mul_f16_sdwa v156, v153, s25 dst_sel:DWORD dst_unused:UNUSED_PAD src0_sel:WORD_1 src1_sel:DWORD
	v_fma_f16 v155, v153, s25, -v155
	v_add_f16_e32 v141, v155, v141
	v_fma_f16 v155, v59, s26, v156
	v_add_f16_e32 v143, v155, v143
	v_pk_add_f16 v155, v61, v60
	v_pk_add_f16 v60, v60, v61 neg_lo:[0,1] neg_hi:[0,1]
	v_pk_mul_f16 v61, v60, s22 op_sel_hi:[1,0]
	v_add_f16_e32 v140, v157, v140
	v_fma_f16 v157, v59, s30, v156
	v_pk_fma_f16 v156, v155, s20, v61 op_sel:[0,0,1] op_sel_hi:[1,0,0]
	v_pk_fma_f16 v61, v155, s20, v61 op_sel:[0,0,1] op_sel_hi:[1,0,0] neg_lo:[0,0,1] neg_hi:[0,0,1]
	v_add_f16_e32 v144, v157, v144
	v_bfi_b32 v157, s0, v156, v61
	v_pk_add_f16 v93, v157, v93
	v_mul_f16_sdwa v157, v60, s19 dst_sel:DWORD dst_unused:UNUSED_PAD src0_sel:WORD_1 src1_sel:DWORD
	v_fma_f16 v158, v155, s5, v157
	v_add_f16_e32 v122, v158, v122
	v_mul_f16_sdwa v158, v155, s5 dst_sel:DWORD dst_unused:UNUSED_PAD src0_sel:WORD_1 src1_sel:DWORD
	v_fma_f16 v157, v155, s5, -v157
	v_add_f16_e32 v121, v157, v121
	v_fma_f16 v157, v60, s19, v158
	v_add_f16_e32 v123, v157, v123
	v_mul_f16_sdwa v157, v60, s16 dst_sel:DWORD dst_unused:UNUSED_PAD src0_sel:WORD_1 src1_sel:DWORD
	v_fma_f16 v159, v60, s14, v158
	v_fma_f16 v158, v155, s13, v157
	v_add_f16_e32 v126, v158, v126
	v_mul_f16_sdwa v158, v155, s13 dst_sel:DWORD dst_unused:UNUSED_PAD src0_sel:WORD_1 src1_sel:DWORD
	v_fma_f16 v157, v155, s13, -v157
	v_add_f16_e32 v125, v157, v125
	v_fma_f16 v157, v60, s16, v158
	v_add_f16_e32 v127, v157, v127
	v_mul_f16_sdwa v157, v60, s28 dst_sel:DWORD dst_unused:UNUSED_PAD src0_sel:WORD_1 src1_sel:DWORD
	v_add_f16_e32 v124, v159, v124
	v_fma_f16 v159, v60, s29, v158
	v_fma_f16 v158, v155, s17, v157
	v_add_f16_e32 v130, v158, v130
	v_mul_f16_sdwa v158, v155, s17 dst_sel:DWORD dst_unused:UNUSED_PAD src0_sel:WORD_1 src1_sel:DWORD
	v_fma_f16 v157, v155, s17, -v157
	v_add_f16_e32 v129, v157, v129
	v_fma_f16 v157, v60, s28, v158
	v_add_f16_e32 v131, v157, v131
	v_mul_f16_sdwa v157, v60, s4 dst_sel:DWORD dst_unused:UNUSED_PAD src0_sel:WORD_1 src1_sel:DWORD
	v_add_f16_e32 v128, v159, v128
	;; [unrolled: 10-line block ×4, first 2 shown]
	v_fma_f16 v159, v60, s30, v158
	v_fma_f16 v158, v155, s3, v157
	v_add_f16_e32 v142, v158, v142
	v_mul_f16_sdwa v158, v155, s3 dst_sel:DWORD dst_unused:UNUSED_PAD src0_sel:WORD_1 src1_sel:DWORD
	v_fma_f16 v157, v155, s3, -v157
	v_add_f16_e32 v141, v157, v141
	v_fma_f16 v157, v60, s23, v158
	v_add_f16_e32 v143, v157, v143
	v_pk_add_f16 v157, v58, v57
	v_pk_add_f16 v57, v57, v58 neg_lo:[0,1] neg_hi:[0,1]
	v_pk_mul_f16 v58, v57, s26 op_sel_hi:[1,0]
	v_add_f16_e32 v140, v159, v140
	v_fma_f16 v159, v60, s12, v158
	v_pk_fma_f16 v158, v157, s25, v58 op_sel:[0,0,1] op_sel_hi:[1,0,0]
	v_pk_fma_f16 v58, v157, s25, v58 op_sel:[0,0,1] op_sel_hi:[1,0,0] neg_lo:[0,0,1] neg_hi:[0,0,1]
	v_add_f16_e32 v144, v159, v144
	v_bfi_b32 v159, s0, v158, v58
	v_pk_add_f16 v93, v159, v93
	v_mul_f16_sdwa v159, v57, s31 dst_sel:DWORD dst_unused:UNUSED_PAD src0_sel:WORD_1 src1_sel:DWORD
	v_fma_f16 v160, v157, s2, v159
	v_add_f16_e32 v122, v160, v122
	v_mul_f16_sdwa v160, v157, s2 dst_sel:DWORD dst_unused:UNUSED_PAD src0_sel:WORD_1 src1_sel:DWORD
	v_fma_f16 v159, v157, s2, -v159
	v_add_f16_e32 v121, v159, v121
	v_fma_f16 v159, v57, s31, v160
	v_add_f16_e32 v123, v159, v123
	v_mul_f16_sdwa v159, v57, s22 dst_sel:DWORD dst_unused:UNUSED_PAD src0_sel:WORD_1 src1_sel:DWORD
	v_fma_f16 v161, v57, s4, v160
	v_fma_f16 v160, v157, s20, v159
	v_add_f16_e32 v126, v160, v126
	v_mul_f16_sdwa v160, v157, s20 dst_sel:DWORD dst_unused:UNUSED_PAD src0_sel:WORD_1 src1_sel:DWORD
	v_fma_f16 v159, v157, s20, -v159
	v_add_f16_e32 v125, v159, v125
	v_fma_f16 v159, v57, s22, v160
	v_add_f16_e32 v127, v159, v127
	v_mul_f16_sdwa v159, v57, s23 dst_sel:DWORD dst_unused:UNUSED_PAD src0_sel:WORD_1 src1_sel:DWORD
	v_add_f16_e32 v124, v161, v124
	v_fma_f16 v161, v57, s27, v160
	v_fma_f16 v160, v157, s3, v159
	v_add_f16_e32 v130, v160, v130
	v_mul_f16_sdwa v160, v157, s3 dst_sel:DWORD dst_unused:UNUSED_PAD src0_sel:WORD_1 src1_sel:DWORD
	v_fma_f16 v159, v157, s3, -v159
	v_add_f16_e32 v129, v159, v129
	v_fma_f16 v159, v57, s23, v160
	v_add_f16_e32 v131, v159, v131
	v_mul_f16_sdwa v159, v57, s21 dst_sel:DWORD dst_unused:UNUSED_PAD src0_sel:WORD_1 src1_sel:DWORD
	v_add_f16_e32 v128, v161, v128
	;; [unrolled: 10-line block ×4, first 2 shown]
	v_fma_f16 v161, v57, s14, v160
	v_fma_f16 v160, v157, s15, v159
	v_add_f16_e32 v142, v160, v142
	v_mul_f16_sdwa v160, v157, s15 dst_sel:DWORD dst_unused:UNUSED_PAD src0_sel:WORD_1 src1_sel:DWORD
	s_waitcnt lgkmcnt(0)
	; wave barrier
	v_add_f16_e32 v140, v161, v140
	v_fma_f16 v161, v57, s24, v160
	ds_write2_b32 v92, v120, v93 offset1:1
	v_pack_b32_f16 v93, v126, v128
	v_pack_b32_f16 v120, v122, v124
	v_add_f16_e32 v144, v161, v144
	ds_write2_b32 v92, v120, v93 offset0:2 offset1:3
	v_pack_b32_f16 v93, v134, v136
	v_pack_b32_f16 v120, v130, v132
	ds_write2_b32 v92, v120, v93 offset0:4 offset1:5
	v_pack_b32_f16 v93, v142, v144
	v_pack_b32_f16 v120, v138, v140
	ds_write2_b32 v92, v120, v93 offset0:6 offset1:7
	v_pk_mul_f16 v93, v119, s25 op_sel_hi:[1,0]
	v_pk_fma_f16 v119, v118, s26, v93 op_sel:[0,0,1] op_sel_hi:[1,0,0]
	v_pk_fma_f16 v93, v118, s26, v93 op_sel:[0,0,1] op_sel_hi:[1,0,0] neg_lo:[1,0,0] neg_hi:[1,0,0]
	v_alignbit_b32 v118, s0, v55, 16
	v_alignbit_b32 v120, s0, v119, 16
	v_pk_add_f16 v118, v118, v119
	v_pk_mul_f16 v119, v145, s2 op_sel_hi:[1,0]
	v_pk_add_f16 v93, v55, v93 op_sel:[1,0] op_sel_hi:[0,1]
	v_pk_fma_f16 v122, v146, s31, v119 op_sel:[0,0,1] op_sel_hi:[1,0,0]
	v_pk_fma_f16 v119, v146, s31, v119 op_sel:[0,0,1] op_sel_hi:[1,0,0] neg_lo:[1,0,0] neg_hi:[1,0,0]
	v_pk_add_f16 v93, v119, v93
	v_pk_mul_f16 v119, v147, s20 op_sel_hi:[1,0]
	v_alignbit_b32 v124, s0, v122, 16
	v_pk_add_f16 v118, v122, v118
	v_pk_fma_f16 v122, v68, s22, v119 op_sel:[0,0,1] op_sel_hi:[1,0,0]
	v_pk_fma_f16 v68, v68, s22, v119 op_sel:[0,0,1] op_sel_hi:[1,0,0] neg_lo:[1,0,0] neg_hi:[1,0,0]
	v_pk_add_f16 v68, v68, v93
	v_pk_add_f16 v93, v122, v118
	v_pk_mul_f16 v118, v149, s3 op_sel_hi:[1,0]
	v_pk_fma_f16 v119, v63, s23, v118 op_sel:[0,0,1] op_sel_hi:[1,0,0]
	v_pk_fma_f16 v63, v63, s23, v118 op_sel:[0,0,1] op_sel_hi:[1,0,0] neg_lo:[1,0,0] neg_hi:[1,0,0]
	v_pk_add_f16 v63, v63, v68
	v_pk_add_f16 v68, v119, v93
	v_pk_mul_f16 v93, v151, s17 op_sel_hi:[1,0]
	v_pk_fma_f16 v118, v64, s21, v93 op_sel:[0,0,1] op_sel_hi:[1,0,0]
	v_pk_fma_f16 v64, v64, s21, v93 op_sel:[0,0,1] op_sel_hi:[1,0,0] neg_lo:[1,0,0] neg_hi:[1,0,0]
	v_pk_add_f16 v120, v55, v120
	v_pk_add_f16 v63, v64, v63
	;; [unrolled: 1-line block ×3, first 2 shown]
	v_pk_mul_f16 v68, v153, s5 op_sel_hi:[1,0]
	v_pk_add_f16 v120, v124, v120
	v_alignbit_b32 v124, s0, v122, 16
	v_pk_fma_f16 v93, v59, s19, v68 op_sel:[0,0,1] op_sel_hi:[1,0,0]
	v_pk_fma_f16 v59, v59, s19, v68 op_sel:[0,0,1] op_sel_hi:[1,0,0] neg_lo:[1,0,0] neg_hi:[1,0,0]
	v_pk_add_f16 v120, v124, v120
	v_alignbit_b32 v122, s0, v119, 16
	v_pk_add_f16 v59, v59, v63
	v_pk_add_f16 v63, v93, v64
	v_pk_mul_f16 v64, v155, s15 op_sel_hi:[1,0]
	v_pk_add_f16 v120, v122, v120
	v_alignbit_b32 v119, s0, v118, 16
	v_pk_fma_f16 v68, v60, s18, v64 op_sel:[0,0,1] op_sel_hi:[1,0,0]
	v_pk_fma_f16 v60, v60, s18, v64 op_sel:[0,0,1] op_sel_hi:[1,0,0] neg_lo:[1,0,0] neg_hi:[1,0,0]
	v_bfi_b32 v56, s0, v117, v56
	v_pk_add_f16 v119, v119, v120
	v_alignbit_b32 v118, s0, v93, 16
	v_pk_add_f16 v59, v60, v59
	v_pk_add_f16 v60, v68, v63
	v_pk_mul_f16 v63, v157, s13 op_sel_hi:[1,0]
	v_pk_add_f16 v55, v55, v56
	v_bfi_b32 v56, s0, v70, v67
	v_fma_f16 v159, v157, s15, -v159
	v_pk_add_f16 v118, v118, v119
	v_alignbit_b32 v93, s0, v68, 16
	v_pk_fma_f16 v64, v57, s29, v63 op_sel:[0,0,1] op_sel_hi:[1,0,0]
	v_pk_add_f16 v55, v56, v55
	v_bfi_b32 v56, s0, v69, v148
	v_add_f16_e32 v141, v159, v141
	v_fma_f16 v159, v57, s18, v160
	v_pk_add_f16 v93, v93, v118
	v_alignbit_b32 v68, s0, v64, 16
	v_pk_fma_f16 v57, v57, s29, v63 op_sel:[0,0,1] op_sel_hi:[1,0,0] neg_lo:[1,0,0] neg_hi:[1,0,0]
	v_pk_add_f16 v55, v56, v55
	v_bfi_b32 v56, s0, v66, v150
	v_pk_add_f16 v68, v68, v93
	v_pk_add_f16 v57, v57, v59
	;; [unrolled: 1-line block ×4, first 2 shown]
	v_bfi_b32 v56, s0, v65, v152
	v_add_f16_e32 v143, v159, v143
	v_alignbit_b32 v59, v59, v57, 16
	v_pack_b32_f16 v57, v68, v57
	v_pk_add_f16 v55, v56, v55
	v_bfi_b32 v56, s0, v62, v154
	ds_write2_b32 v92, v57, v59 offset0:8 offset1:9
	v_pack_b32_f16 v57, v137, v139
	v_pack_b32_f16 v59, v141, v143
	v_pk_add_f16 v55, v56, v55
	v_bfi_b32 v56, s0, v61, v156
	ds_write2_b32 v92, v59, v57 offset0:10 offset1:11
	v_pack_b32_f16 v57, v129, v131
	v_pack_b32_f16 v59, v133, v135
	v_pk_add_f16 v55, v56, v55
	v_bfi_b32 v56, s0, v58, v158
	v_add_u32_e32 v164, 0x88, v72
	v_add_u32_e32 v163, 0xcc, v72
	;; [unrolled: 1-line block ×3, first 2 shown]
	ds_write2_b32 v92, v59, v57 offset0:12 offset1:13
	v_pack_b32_f16 v57, v121, v123
	v_pack_b32_f16 v59, v125, v127
	v_pk_add_f16 v55, v56, v55
	ds_write2_b32 v92, v59, v57 offset0:14 offset1:15
	ds_write_b32 v92, v55 offset:64
	s_and_saveexec_b64 s[0:1], vcc
	s_cbranch_execz .LBB0_13
; %bb.12:
	buffer_load_dword v95, off, s[40:43], 0 offset:4 ; 4-byte Folded Reload
	v_add_f16_sdwa v93, v101, v111 dst_sel:DWORD dst_unused:UNUSED_PAD src0_sel:WORD_1 src1_sel:DWORD
	v_mul_f16_e32 v122, 0xbbdd, v93
	v_sub_f16_e32 v56, v46, v100
	v_add_f16_e32 v123, v94, v110
	v_fma_f16 v55, v56, s30, v122
	v_mul_f16_e32 v124, 0x3b76, v123
	v_sub_f16_e32 v57, v47, v40
	v_add_f16_e32 v55, v109, v55
	v_fma_f16 v58, v57, s4, v124
	v_add_f16_e32 v125, v97, v112
	v_add_f16_e32 v55, v58, v55
	v_mul_f16_e32 v126, 0xbacd, v125
	v_sub_f16_e32 v58, v48, v39
	v_fma_f16 v59, v58, s27, v126
	v_add_f16_e32 v127, v99, v113
	v_add_f16_e32 v55, v59, v55
	v_mul_f16_e32 v128, 0x39e9, v127
	v_sub_f16_e32 v59, v49, v42
	;; [unrolled: 5-line block ×4, first 2 shown]
	v_fma_f16 v62, v61, s14, v132
	v_add_f16_e32 v55, v62, v55
	v_sub_f16_e32 v62, v52, v43
	v_add_f16_e32 v135, v103, v102
	v_mul_f16_e32 v136, 0x2de8, v135
	v_sub_f16_sdwa v137, v111, v101 dst_sel:DWORD dst_unused:UNUSED_PAD src0_sel:DWORD src1_sel:WORD_1
	v_mul_f16_e32 v138, 0xb1e1, v137
	v_sub_f16_e32 v139, v110, v94
	v_mul_f16_e32 v140, 0x35c8, v139
	v_sub_f16_e32 v141, v112, v97
	v_mul_f16_e32 v142, 0xb836, v141
	v_sub_f16_e32 v143, v113, v99
	v_mul_f16_e32 v144, 0x3964, v143
	v_sub_f16_e32 v145, v114, v96
	v_mul_f16_e32 v146, 0xba62, v145
	v_sub_f16_e32 v147, v116, v98
	v_mul_f16_e32 v148, 0x3b29, v147
	v_sub_f16_e32 v151, v102, v103
	v_mul_f16_e32 v152, 0x3bf7, v151
	v_mul_f16_e32 v153, 0xbacd, v93
	;; [unrolled: 1-line block ×3, first 2 shown]
	v_fma_f16 v119, v57, s14, v154
	v_mul_f16_e32 v155, 0x2de8, v125
	v_mul_f16_e32 v156, 0xb8d2, v127
	;; [unrolled: 1-line block ×12, first 2 shown]
	v_fma_f16 v121, v57, s18, v170
	v_mul_f16_e32 v171, 0x3b76, v125
	v_mul_f16_e32 v172, 0xbacd, v127
	v_mul_f16_e32 v173, 0x2de8, v129
	v_mul_f16_e32 v174, 0x39e9, v131
	v_mul_f16_e32 v176, 0x3722, v135
	v_mul_f16_e32 v177, 0xba62, v137
	v_mul_f16_e32 v178, 0x3bb2, v139
	v_mul_f16_e32 v187, 0xbacd, v123
	v_fma_f16 v188, v57, s22, v187
	v_mul_f16_e32 v196, 0x3836, v139
	v_mul_f16_e32 v205, 0xbbdd, v123
	v_fma_f16 v206, v57, s30, v205
	v_mul_f16_e32 v214, 0xb1e1, v139
	v_mul_f16_e32 v223, 0xb8d2, v123
	v_fma_f16 v224, v57, s28, v223
	v_mul_f16_e32 v232, 0xba62, v139
	s_waitcnt vmcnt(0)
	v_add_f16_e32 v133, v95, v115
	v_mul_f16_e32 v134, 0xb461, v133
	v_fma_f16 v63, v62, s24, v134
	v_add_f16_e32 v55, v63, v55
	v_sub_f16_e32 v63, v101, v54
	v_fma_f16 v64, v63, s16, v136
	v_add_f16_e32 v73, v64, v55
	v_add_f16_e32 v64, v100, v46
	v_fma_f16 v65, v64, s25, v138
	v_add_f16_e32 v66, v45, v65
	v_add_f16_e32 v65, v40, v47
	;; [unrolled: 3-line block ×6, first 2 shown]
	v_fma_f16 v92, v70, s5, v148
	v_sub_f16_e32 v149, v115, v95
	v_add_f16_e32 v68, v92, v68
	v_add_f16_e32 v92, v43, v52
	v_mul_f16_e32 v150, 0xbbb2, v149
	v_fma_f16 v117, v92, s15, v150
	v_add_f16_e32 v68, v117, v68
	v_add_f16_e32 v117, v54, v101
	v_fma_f16 v118, v117, s13, v152
	v_add_f16_e32 v74, v118, v68
	v_fma_f16 v118, v56, s27, v153
	v_add_f16_e32 v118, v109, v118
	v_add_f16_e32 v118, v119, v118
	v_fma_f16 v119, v58, s29, v155
	v_add_f16_e32 v118, v119, v118
	v_fma_f16 v119, v59, s21, v156
	;; [unrolled: 2-line block ×4, first 2 shown]
	v_mul_f16_e32 v159, 0x39e9, v133
	v_add_f16_e32 v118, v119, v118
	v_fma_f16 v119, v62, s12, v159
	v_add_f16_e32 v118, v119, v118
	v_fma_f16 v119, v63, s24, v160
	;; [unrolled: 2-line block ×4, first 2 shown]
	v_mov_b32_e32 v118, v106
	v_mov_b32_e32 v106, v163
	v_mul_f16_e32 v163, 0xbbf7, v141
	v_add_f16_e32 v119, v120, v119
	v_fma_f16 v120, v66, s13, v163
	v_mov_b32_e32 v68, v164
	v_mul_f16_e32 v164, 0x3a62, v143
	v_add_f16_e32 v119, v120, v119
	v_fma_f16 v120, v67, s17, v164
	v_add_f16_e32 v119, v120, v119
	v_fma_f16 v120, v69, s2, v165
	;; [unrolled: 2-line block ×3, first 2 shown]
	v_mul_f16_e32 v167, 0x3964, v149
	v_add_f16_e32 v119, v120, v119
	v_fma_f16 v120, v92, s3, v167
	v_add_f16_e32 v119, v120, v119
	v_fma_f16 v120, v117, s15, v168
	;; [unrolled: 2-line block ×3, first 2 shown]
	v_add_f16_e32 v120, v109, v120
	v_add_f16_e32 v120, v121, v120
	v_fma_f16 v121, v58, s31, v171
	v_add_f16_e32 v120, v121, v120
	v_fma_f16 v121, v59, s27, v172
	;; [unrolled: 2-line block ×4, first 2 shown]
	v_mul_f16_e32 v175, 0xbbdd, v133
	v_add_f16_e32 v120, v121, v120
	v_fma_f16 v121, v62, s30, v175
	v_add_f16_e32 v120, v121, v120
	v_fma_f16 v121, v63, s14, v176
	;; [unrolled: 2-line block ×4, first 2 shown]
	v_add_f16_e32 v121, v179, v121
	v_mul_f16_e32 v179, 0xb5c8, v141
	v_fma_f16 v180, v66, s2, v179
	v_add_f16_e32 v121, v180, v121
	v_mul_f16_e32 v180, 0xb836, v143
	v_fma_f16 v181, v67, s20, v180
	v_add_f16_e32 v121, v181, v121
	v_mul_f16_e32 v181, 0x3bf7, v145
	v_fma_f16 v182, v69, s13, v181
	v_add_f16_e32 v121, v182, v121
	v_mul_f16_e32 v182, 0xb964, v147
	v_fma_f16 v183, v70, s3, v182
	v_add_f16_e32 v121, v183, v121
	v_mul_f16_e32 v183, 0xb1e1, v149
	v_fma_f16 v184, v92, s25, v183
	v_add_f16_e32 v121, v184, v121
	v_mul_f16_e32 v184, 0x3b29, v151
	v_fma_f16 v185, v117, s5, v184
	v_add_f16_e32 v121, v185, v121
	v_mul_f16_e32 v185, 0xb461, v93
	v_fma_f16 v186, v56, s24, v185
	v_add_f16_e32 v186, v109, v186
	v_add_f16_e32 v186, v188, v186
	v_mul_f16_e32 v188, 0x39e9, v125
	v_fma_f16 v189, v58, s12, v188
	v_add_f16_e32 v186, v189, v186
	v_mul_f16_e32 v189, 0x3722, v127
	v_fma_f16 v190, v59, s19, v189
	;; [unrolled: 3-line block ×7, first 2 shown]
	v_add_f16_e32 v195, v45, v195
	v_fma_f16 v197, v65, s20, v196
	v_add_f16_e32 v195, v197, v195
	v_mul_f16_e32 v197, 0x3964, v141
	v_fma_f16 v198, v66, s3, v197
	v_add_f16_e32 v195, v198, v195
	v_mul_f16_e32 v198, 0xbb29, v143
	v_fma_f16 v199, v67, s5, v198
	v_add_f16_e32 v195, v199, v195
	v_mul_f16_e32 v199, 0xb1e1, v145
	v_fma_f16 v200, v69, s25, v199
	v_add_f16_e32 v195, v200, v195
	v_mul_f16_e32 v200, 0x3bf7, v147
	v_fma_f16 v201, v70, s13, v200
	v_add_f16_e32 v46, v46, v45
	v_add_f16_e32 v195, v201, v195
	v_mul_f16_e32 v201, 0xb5c8, v149
	v_add_f16_e32 v46, v47, v46
	v_fma_f16 v202, v92, s2, v201
	v_add_f16_e32 v46, v48, v46
	v_add_f16_e32 v195, v202, v195
	v_mul_f16_e32 v202, 0xba62, v151
	v_add_f16_e32 v46, v49, v46
	;; [unrolled: 5-line block ×3, first 2 shown]
	v_fma_f16 v204, v56, s29, v203
	v_add_f16_e32 v46, v52, v46
	v_add_f16_e32 v204, v109, v204
	;; [unrolled: 1-line block ×4, first 2 shown]
	v_mul_f16_e32 v206, 0xb461, v125
	v_add_f16_e32 v46, v54, v46
	v_fma_f16 v207, v58, s18, v206
	v_add_f16_e32 v43, v43, v46
	v_add_f16_e32 v204, v207, v204
	v_mul_f16_e32 v207, 0x3b76, v127
	v_add_f16_e32 v43, v44, v43
	v_fma_f16 v208, v59, s4, v207
	v_add_f16_e32 v41, v41, v43
	v_add_f16_e32 v204, v208, v204
	v_mul_f16_e32 v208, 0x3722, v129
	v_add_f16_e32 v41, v42, v41
	v_fma_f16 v209, v60, s19, v208
	v_add_f16_e32 v39, v39, v41
	v_fma_f16 v41, v56, s26, v122
	v_add_f16_e32 v204, v209, v204
	v_mul_f16_e32 v209, 0xbacd, v131
	v_add_f16_e32 v41, v109, v41
	v_fma_f16 v42, v57, s31, v124
	v_fma_f16 v210, v61, s27, v209
	v_add_f16_e32 v41, v42, v41
	v_fma_f16 v42, v58, s22, v126
	v_add_f16_e32 v204, v210, v204
	v_mul_f16_e32 v210, 0xb8d2, v133
	v_add_f16_e32 v41, v42, v41
	v_fma_f16 v42, v59, s23, v128
	;; [unrolled: 7-line block ×4, first 2 shown]
	v_fma_f16 v213, v64, s13, v212
	v_add_f16_e32 v41, v42, v41
	v_fma_f16 v42, v64, s25, -v138
	v_add_f16_e32 v213, v45, v213
	v_fma_f16 v215, v65, s25, v214
	v_add_f16_e32 v42, v45, v42
	v_fma_f16 v43, v65, s2, -v140
	v_add_f16_e32 v213, v215, v213
	v_mul_f16_e32 v215, 0x3bb2, v141
	v_add_f16_e32 v42, v43, v42
	v_fma_f16 v43, v66, s20, -v142
	v_fma_f16 v216, v66, s15, v215
	v_add_f16_e32 v42, v43, v42
	v_fma_f16 v43, v67, s3, -v144
	v_add_f16_e32 v213, v216, v213
	v_mul_f16_e32 v216, 0x35c8, v143
	v_add_f16_e32 v42, v43, v42
	v_fma_f16 v43, v69, s17, -v146
	;; [unrolled: 7-line block ×3, first 2 shown]
	v_fma_f16 v218, v69, s5, v217
	v_add_f16_e32 v42, v43, v42
	v_fma_f16 v43, v117, s13, -v152
	v_add_f16_e32 v213, v218, v213
	v_mul_f16_e32 v218, 0xb836, v147
	v_add_f16_e32 v42, v43, v42
	v_fma_f16 v43, v56, s22, v153
	v_fma_f16 v219, v70, s20, v218
	v_add_f16_e32 v43, v109, v43
	v_fma_f16 v44, v57, s19, v154
	v_add_f16_e32 v213, v219, v213
	v_mul_f16_e32 v219, 0x3a62, v149
	v_add_f16_e32 v43, v44, v43
	v_fma_f16 v44, v58, s16, v155
	v_fma_f16 v220, v92, s17, v219
	v_add_f16_e32 v43, v44, v43
	v_fma_f16 v44, v59, s28, v156
	;; [unrolled: 7-line block ×4, first 2 shown]
	v_add_f16_e32 v222, v109, v222
	v_add_f16_e32 v43, v44, v43
	v_fma_f16 v44, v64, s20, -v161
	v_add_f16_e32 v222, v224, v222
	v_mul_f16_e32 v224, 0xbbdd, v125
	v_add_f16_e32 v44, v45, v44
	v_fma_f16 v46, v65, s5, -v162
	v_fma_f16 v225, v58, s26, v224
	v_add_f16_e32 v44, v46, v44
	v_fma_f16 v46, v66, s13, -v163
	v_add_f16_e32 v222, v225, v222
	v_mul_f16_e32 v225, 0xb461, v127
	v_add_f16_e32 v44, v46, v44
	v_fma_f16 v46, v67, s17, -v164
	v_fma_f16 v226, v59, s18, v225
	;; [unrolled: 7-line block ×4, first 2 shown]
	v_add_f16_e32 v44, v46, v44
	v_fma_f16 v46, v56, s21, v169
	v_add_f16_e32 v222, v228, v222
	v_mul_f16_e32 v228, 0x2de8, v133
	v_add_f16_e32 v46, v109, v46
	v_fma_f16 v47, v57, s24, v170
	v_fma_f16 v229, v62, s29, v228
	v_add_f16_e32 v46, v47, v46
	v_fma_f16 v47, v58, s4, v171
	v_add_f16_e32 v222, v229, v222
	v_mul_f16_e32 v229, 0xbacd, v135
	v_add_f16_e32 v46, v47, v46
	v_fma_f16 v47, v59, s22, v172
	v_fma_f16 v230, v63, s27, v229
	;; [unrolled: 7-line block ×3, first 2 shown]
	v_add_f16_e32 v46, v47, v46
	v_fma_f16 v47, v62, s26, v175
	v_add_f16_e32 v231, v45, v231
	v_fma_f16 v233, v65, s17, v232
	;; [unrolled: 2-line block ×3, first 2 shown]
	v_add_f16_e32 v231, v233, v231
	v_mul_f16_e32 v233, 0x31e1, v141
	v_add_f16_e32 v46, v47, v46
	v_fma_f16 v47, v64, s17, -v177
	v_fma_f16 v234, v66, s25, v233
	v_add_f16_e32 v47, v45, v47
	v_fma_f16 v48, v65, s15, -v178
	v_add_f16_e32 v231, v234, v231
	v_mul_f16_e32 v234, 0x3bb2, v143
	v_add_f16_e32 v47, v48, v47
	v_fma_f16 v48, v66, s2, -v179
	v_fma_f16 v235, v67, s15, v234
	v_add_f16_e32 v47, v48, v47
	v_fma_f16 v48, v67, s20, -v180
	;; [unrolled: 7-line block ×4, first 2 shown]
	v_add_f16_e32 v231, v237, v231
	v_mul_f16_e32 v237, 0xbbf7, v149
	v_add_f16_e32 v47, v48, v47
	v_fma_f16 v48, v56, s18, v185
	v_fma_f16 v238, v92, s13, v237
	v_add_f16_e32 v48, v109, v48
	v_fma_f16 v49, v57, s27, v187
	v_add_f16_e32 v231, v238, v231
	v_mul_f16_e32 v238, 0xb836, v151
	v_add_f16_e32 v48, v49, v48
	v_fma_f16 v49, v58, s23, v188
	v_fma_f16 v239, v117, s20, v238
	v_add_f16_e32 v48, v49, v48
	v_fma_f16 v49, v59, s14, v189
	v_add_f16_e32 v231, v239, v231
	v_mul_f16_e32 v239, 0x39e9, v93
	v_add_f16_e32 v48, v49, v48
	v_fma_f16 v49, v60, s26, v190
	v_fma_f16 v240, v56, s23, v239
	v_mul_f16_e32 v241, 0x2de8, v123
	v_add_f16_e32 v48, v49, v48
	v_fma_f16 v49, v61, s29, v191
	v_add_f16_e32 v240, v109, v240
	v_fma_f16 v242, v57, s29, v241
	;; [unrolled: 2-line block ×3, first 2 shown]
	v_add_f16_e32 v240, v242, v240
	v_mul_f16_e32 v242, 0xb8d2, v125
	v_add_f16_e32 v48, v49, v48
	v_fma_f16 v49, v63, s21, v193
	v_fma_f16 v243, v58, s28, v242
	v_add_f16_e32 v48, v49, v48
	v_fma_f16 v49, v64, s15, -v194
	v_add_f16_e32 v240, v243, v240
	v_mul_f16_e32 v243, 0xbbdd, v127
	v_add_f16_e32 v49, v45, v49
	v_fma_f16 v50, v65, s20, -v196
	v_fma_f16 v244, v59, s30, v243
	v_add_f16_e32 v49, v50, v49
	v_fma_f16 v50, v66, s3, -v197
	v_add_f16_e32 v240, v244, v240
	v_mul_f16_e32 v244, 0xbacd, v129
	v_add_f16_e32 v49, v50, v49
	v_fma_f16 v50, v67, s5, -v198
	;; [unrolled: 7-line block ×4, first 2 shown]
	v_fma_f16 v247, v62, s14, v246
	v_add_f16_e32 v49, v50, v49
	v_fma_f16 v50, v56, s16, v203
	v_add_f16_e32 v240, v247, v240
	v_mul_f16_e32 v247, 0x3b76, v135
	v_add_f16_e32 v50, v109, v50
	v_fma_f16 v51, v57, s26, v205
	v_fma_f16 v248, v63, s4, v247
	v_add_f16_e32 v50, v51, v50
	v_fma_f16 v51, v58, s24, v206
	v_add_f16_e32 v240, v248, v240
	v_mul_f16_e32 v248, 0xb964, v137
	v_add_f16_e32 v50, v51, v50
	v_fma_f16 v51, v59, s31, v207
	v_fma_f16 v249, v64, s3, v248
	v_mul_f16_e32 v250, 0xbbf7, v139
	v_add_f16_e32 v50, v51, v50
	v_fma_f16 v51, v60, s14, v208
	v_add_f16_e32 v249, v45, v249
	v_fma_f16 v251, v65, s13, v250
	;; [unrolled: 2-line block ×3, first 2 shown]
	v_add_f16_e32 v249, v251, v249
	v_mul_f16_e32 v251, 0xba62, v141
	v_add_f16_e32 v50, v51, v50
	v_fma_f16 v51, v62, s28, v210
	v_fma_f16 v252, v66, s17, v251
	v_add_f16_e32 v50, v51, v50
	v_fma_f16 v51, v63, s23, v211
	v_add_f16_e32 v249, v252, v249
	v_mul_f16_e32 v252, 0xb1e1, v143
	v_add_f16_e32 v50, v51, v50
	v_fma_f16 v51, v64, s13, -v212
	v_fma_f16 v253, v67, s25, v252
	v_add_f16_e32 v51, v45, v51
	v_fma_f16 v52, v65, s25, -v214
	v_add_f16_e32 v249, v253, v249
	v_mul_f16_e32 v253, 0x3836, v145
	v_add_f16_e32 v51, v52, v51
	v_fma_f16 v52, v66, s15, -v215
	v_fma_f16 v254, v69, s20, v253
	v_add_f16_e32 v39, v40, v39
	v_add_f16_e32 v40, v111, v109
	;; [unrolled: 1-line block ×3, first 2 shown]
	v_fma_f16 v52, v67, s2, -v216
	v_add_f16_e32 v249, v254, v249
	v_mul_f16_e32 v254, 0x3bb2, v147
	v_add_f16_e32 v40, v110, v40
	v_add_f16_e32 v51, v52, v51
	v_fma_f16 v52, v69, s5, -v217
	v_fma_f16 v255, v70, s15, v254
	v_add_f16_e32 v40, v112, v40
	v_add_f16_e32 v51, v52, v51
	v_fma_f16 v52, v70, s20, -v218
	v_add_f16_e32 v249, v255, v249
	v_mul_f16_e32 v255, 0x3b29, v149
	v_add_f16_e32 v40, v113, v40
	v_add_f16_e32 v51, v52, v51
	v_fma_f16 v52, v92, s17, -v219
	v_fma_f16 v90, v92, s5, v255
	v_add_f16_e32 v40, v114, v40
	v_add_f16_e32 v51, v52, v51
	v_fma_f16 v52, v117, s3, -v220
	v_add_f16_e32 v90, v90, v249
	v_mul_f16_e32 v249, 0x35c8, v151
	v_add_f16_e32 v40, v116, v40
	v_add_f16_e32 v51, v52, v51
	v_fma_f16 v52, v56, s14, v221
	v_fma_f16 v53, v117, s2, v249
	v_add_f16_e32 v40, v115, v40
	v_add_f16_e32 v52, v109, v52
	v_fma_f16 v54, v57, s21, v223
	v_add_f16_e32 v53, v53, v90
	v_mul_f16_e32 v90, 0x3b76, v93
	v_add_f16_e32 v40, v102, v40
	v_add_f16_e32 v52, v54, v52
	v_fma_f16 v54, v58, s30, v224
	v_fma_f16 v93, v56, s31, v90
	v_mul_f16_e32 v123, 0x39e9, v123
	v_add_f16_e32 v40, v103, v40
	v_add_f16_e32 v52, v54, v52
	v_fma_f16 v54, v59, s24, v225
	v_add_f16_e32 v93, v109, v93
	v_fma_f16 v107, v57, s23, v123
	v_add_f16_e32 v40, v95, v40
	v_add_f16_e32 v52, v54, v52
	v_fma_f16 v54, v60, s23, v226
	v_add_f16_e32 v93, v107, v93
	v_mul_f16_e32 v107, 0x3722, v125
	v_add_f16_e32 v40, v98, v40
	v_add_f16_e32 v52, v54, v52
	v_fma_f16 v54, v61, s4, v227
	v_fma_f16 v125, v58, s19, v107
	v_add_f16_e32 v40, v96, v40
	v_add_f16_e32 v52, v54, v52
	v_fma_f16 v54, v62, s16, v228
	v_add_f16_e32 v93, v125, v93
	v_mul_f16_e32 v125, 0x2de8, v127
	v_add_f16_e32 v40, v99, v40
	v_add_f16_e32 v52, v54, v52
	v_fma_f16 v54, v63, s22, v229
	v_fma_f16 v127, v59, s29, v125
	v_add_f16_e32 v40, v97, v40
	v_add_f16_e32 v52, v54, v52
	v_fma_f16 v54, v64, s5, -v230
	v_add_f16_e32 v93, v127, v93
	v_mul_f16_e32 v127, 0xb461, v129
	v_add_f16_e32 v40, v94, v40
	v_add_f16_e32 v54, v45, v54
	v_fma_f16 v94, v65, s17, -v232
	v_fma_f16 v129, v60, s24, v127
	v_add_f16_e32 v54, v94, v54
	v_fma_f16 v94, v66, s25, -v233
	v_add_f16_e32 v93, v129, v93
	v_mul_f16_e32 v129, 0xb8d2, v131
	v_add_f16_e32 v54, v94, v54
	v_fma_f16 v94, v67, s15, -v234
	v_fma_f16 v131, v61, s28, v129
	v_add_f16_e32 v54, v94, v54
	v_fma_f16 v94, v69, s3, -v235
	v_add_f16_e32 v93, v131, v93
	v_mul_f16_e32 v131, 0xbacd, v133
	;; [unrolled: 7-line block ×3, first 2 shown]
	v_add_f16_e32 v54, v94, v54
	v_fma_f16 v94, v117, s20, -v238
	v_fma_f16 v135, v63, s30, v133
	v_add_f16_e32 v54, v94, v54
	v_fma_f16 v94, v56, s12, v239
	v_fma_f16 v56, v56, s4, v90
	v_add_f16_e32 v93, v135, v93
	v_mul_f16_e32 v135, 0xb5c8, v137
	v_add_f16_e32 v94, v109, v94
	v_fma_f16 v95, v57, s16, v241
	v_add_f16_e32 v56, v109, v56
	v_fma_f16 v57, v57, s12, v123
	v_fma_f16 v137, v64, s2, v135
	v_mul_f16_e32 v139, 0xb964, v139
	v_add_f16_e32 v94, v95, v94
	v_fma_f16 v95, v58, s21, v242
	v_add_f16_e32 v56, v57, v56
	v_fma_f16 v57, v58, s14, v107
	;; [unrolled: 2-line block ×5, first 2 shown]
	v_add_f16_e32 v108, v108, v137
	v_mul_f16_e32 v137, 0xbb29, v141
	v_add_f16_e32 v94, v95, v94
	v_fma_f16 v95, v60, s27, v244
	v_add_f16_e32 v56, v57, v56
	v_fma_f16 v57, v60, s18, v127
	v_fma_f16 v141, v66, s5, v137
	v_add_f16_e32 v94, v95, v94
	v_fma_f16 v95, v61, s24, v245
	v_add_f16_e32 v56, v57, v56
	;; [unrolled: 2-line block ×3, first 2 shown]
	v_mul_f16_e32 v141, 0xbbf7, v143
	v_add_f16_e32 v94, v95, v94
	v_fma_f16 v95, v62, s19, v246
	v_add_f16_e32 v56, v57, v56
	v_fma_f16 v57, v62, s22, v131
	v_fma_f16 v143, v67, s13, v141
	v_add_f16_e32 v94, v95, v94
	v_fma_f16 v95, v63, s31, v247
	v_add_f16_e32 v56, v57, v56
	;; [unrolled: 2-line block ×3, first 2 shown]
	v_mul_f16_e32 v143, 0xbbb2, v145
	v_add_f16_e32 v94, v95, v94
	v_fma_f16 v95, v64, s3, -v248
	v_add_f16_e32 v56, v57, v56
	v_fma_f16 v57, v64, s2, -v135
	v_fma_f16 v145, v69, s15, v143
	v_add_f16_e32 v95, v45, v95
	v_add_f16_e32 v45, v45, v57
	v_fma_f16 v57, v65, s3, -v139
	v_add_f16_e32 v108, v145, v108
	v_mul_f16_e32 v145, 0xba62, v147
	v_add_f16_e32 v45, v57, v45
	v_fma_f16 v57, v66, s5, -v137
	v_fma_f16 v147, v70, s17, v145
	v_add_f16_e32 v45, v57, v45
	v_fma_f16 v57, v67, s13, -v141
	v_add_f16_e32 v108, v147, v108
	v_mul_f16_e32 v147, 0xb836, v149
	v_add_f16_e32 v45, v57, v45
	v_fma_f16 v57, v69, s15, -v143
	v_fma_f16 v149, v92, s20, v147
	v_add_f16_e32 v45, v57, v45
	v_fma_f16 v57, v70, s17, -v145
	v_add_f16_e32 v108, v149, v108
	v_mul_f16_e32 v149, 0xb1e1, v151
	v_add_f16_e32 v45, v57, v45
	v_fma_f16 v57, v92, s20, -v147
	v_add_f16_e32 v45, v57, v45
	v_fma_f16 v57, v117, s25, -v149
	v_add_f16_e32 v45, v57, v45
	buffer_load_dword v57, off, s[40:43], 0 offset:52 ; 4-byte Folded Reload
	buffer_load_dword v58, off, s[40:43], 0 ; 4-byte Folded Reload
	v_fma_f16 v151, v117, s25, v149
	v_add_f16_e32 v108, v151, v108
	v_add_f16_e32 v39, v100, v39
	v_add_f16_sdwa v40, v101, v40 dst_sel:DWORD dst_unused:UNUSED_PAD src0_sel:WORD_1 src1_sel:DWORD
	v_fma_f16 v96, v65, s13, -v250
	v_add_f16_e32 v95, v96, v95
	v_fma_f16 v96, v66, s17, -v251
	v_pack_b32_f16 v39, v39, v40
	v_add_f16_e32 v95, v96, v95
	v_fma_f16 v96, v67, s25, -v252
	v_pack_b32_f16 v40, v53, v240
	v_add_f16_e32 v95, v96, v95
	v_fma_f16 v96, v69, s20, -v253
	v_add_f16_e32 v95, v96, v95
	v_fma_f16 v96, v70, s15, -v254
	;; [unrolled: 2-line block ×4, first 2 shown]
	v_add_f16_e32 v95, v96, v95
	v_add_u32_e32 v162, 0x110, v72
	v_mov_b32_e32 v163, v106
	v_mov_b32_e32 v106, v118
	;; [unrolled: 1-line block ×3, first 2 shown]
	s_waitcnt vmcnt(0)
	v_lshl_add_u32 v57, v57, 2, v58
	v_pack_b32_f16 v58, v108, v93
	ds_write2_b32 v57, v39, v58 offset1:1
	v_pack_b32_f16 v39, v231, v222
	ds_write2_b32 v57, v40, v39 offset0:2 offset1:3
	v_pack_b32_f16 v39, v195, v186
	v_pack_b32_f16 v40, v213, v204
	ds_write2_b32 v57, v40, v39 offset0:4 offset1:5
	v_pack_b32_f16 v39, v119, v75
	v_pack_b32_f16 v40, v121, v120
	ds_write2_b32 v57, v40, v39 offset0:6 offset1:7
	v_pack_b32_f16 v39, v42, v41
	v_pack_b32_f16 v40, v74, v73
	ds_write2_b32 v57, v40, v39 offset0:8 offset1:9
	v_pack_b32_f16 v39, v47, v46
	v_pack_b32_f16 v40, v44, v43
	ds_write2_b32 v57, v40, v39 offset0:10 offset1:11
	v_pack_b32_f16 v39, v51, v50
	v_pack_b32_f16 v40, v49, v48
	ds_write2_b32 v57, v40, v39 offset0:12 offset1:13
	v_pack_b32_f16 v39, v95, v94
	v_pack_b32_f16 v40, v54, v52
	ds_write2_b32 v57, v40, v39 offset0:14 offset1:15
	v_pack_b32_f16 v39, v45, v56
	ds_write_b32 v57, v39 offset:64
.LBB0_13:
	s_or_b64 exec, exec, s[0:1]
	s_waitcnt lgkmcnt(0)
	; wave barrier
	s_waitcnt lgkmcnt(0)
	ds_read2_b32 v[40:41], v72 offset1:17
	ds_read2_b32 v[42:43], v72 offset0:68 offset1:85
	ds_read2_b32 v[44:45], v72 offset0:170 offset1:187
	;; [unrolled: 1-line block ×3, first 2 shown]
	v_add_u32_e32 v39, 0x400, v72
	ds_read2_b32 v[48:49], v39 offset0:84 offset1:101
	s_waitcnt lgkmcnt(3)
	v_lshrrev_b32_e32 v53, 16, v43
	v_mul_f16_sdwa v113, v0, v53 dst_sel:DWORD dst_unused:UNUSED_PAD src0_sel:WORD_1 src1_sel:DWORD
	s_waitcnt lgkmcnt(2)
	v_lshrrev_b32_e32 v66, 16, v44
	v_fma_f16 v113, v0, v43, v113
	v_mul_f16_sdwa v43, v0, v43 dst_sel:DWORD dst_unused:UNUSED_PAD src0_sel:WORD_1 src1_sel:DWORD
	ds_read2_b32 v[50:51], v72 offset0:102 offset1:119
	v_fma_f16 v43, v0, v53, -v43
	v_mul_f16_sdwa v53, v1, v66 dst_sel:DWORD dst_unused:UNUSED_PAD src0_sel:WORD_1 src1_sel:DWORD
	s_waitcnt lgkmcnt(2)
	v_lshrrev_b32_e32 v67, 16, v47
	v_fma_f16 v53, v1, v44, v53
	v_mul_f16_sdwa v44, v1, v44 dst_sel:DWORD dst_unused:UNUSED_PAD src0_sel:WORD_1 src1_sel:DWORD
	v_fma_f16 v44, v1, v66, -v44
	v_mul_f16_sdwa v66, v2, v67 dst_sel:DWORD dst_unused:UNUSED_PAD src0_sel:WORD_1 src1_sel:DWORD
	s_waitcnt lgkmcnt(1)
	v_lshrrev_b32_e32 v68, 16, v48
	v_fma_f16 v66, v2, v47, v66
	v_mul_f16_sdwa v47, v2, v47 dst_sel:DWORD dst_unused:UNUSED_PAD src0_sel:WORD_1 src1_sel:DWORD
	ds_read2_b32 v[54:55], v39 offset0:16 offset1:33
	v_fma_f16 v47, v2, v67, -v47
	v_mul_f16_sdwa v67, v3, v68 dst_sel:DWORD dst_unused:UNUSED_PAD src0_sel:WORD_1 src1_sel:DWORD
	s_waitcnt lgkmcnt(1)
	v_lshrrev_b32_e32 v70, 16, v50
	v_fma_f16 v67, v3, v48, v67
	v_mul_f16_sdwa v48, v3, v48 dst_sel:DWORD dst_unused:UNUSED_PAD src0_sel:WORD_1 src1_sel:DWORD
	v_fma_f16 v48, v3, v68, -v48
	v_mul_f16_sdwa v68, v0, v70 dst_sel:DWORD dst_unused:UNUSED_PAD src0_sel:WORD_1 src1_sel:DWORD
	v_lshrrev_b32_e32 v90, 16, v45
	v_fma_f16 v68, v0, v50, v68
	v_mul_f16_sdwa v50, v0, v50 dst_sel:DWORD dst_unused:UNUSED_PAD src0_sel:WORD_1 src1_sel:DWORD
	v_fma_f16 v0, v0, v70, -v50
	v_mul_f16_sdwa v50, v1, v90 dst_sel:DWORD dst_unused:UNUSED_PAD src0_sel:WORD_1 src1_sel:DWORD
	s_waitcnt lgkmcnt(0)
	v_lshrrev_b32_e32 v92, 16, v54
	v_fma_f16 v50, v1, v45, v50
	v_mul_f16_sdwa v45, v1, v45 dst_sel:DWORD dst_unused:UNUSED_PAD src0_sel:WORD_1 src1_sel:DWORD
	ds_read2_b32 v[58:59], v72 offset0:204 offset1:221
	v_fma_f16 v1, v1, v90, -v45
	v_mul_f16_sdwa v45, v2, v92 dst_sel:DWORD dst_unused:UNUSED_PAD src0_sel:WORD_1 src1_sel:DWORD
	v_lshrrev_b32_e32 v93, 16, v49
	v_fma_f16 v45, v2, v54, v45
	v_mul_f16_sdwa v54, v2, v54 dst_sel:DWORD dst_unused:UNUSED_PAD src0_sel:WORD_1 src1_sel:DWORD
	v_fma_f16 v2, v2, v92, -v54
	v_mul_f16_sdwa v54, v3, v93 dst_sel:DWORD dst_unused:UNUSED_PAD src0_sel:WORD_1 src1_sel:DWORD
	v_lshrrev_b32_e32 v95, 16, v51
	v_fma_f16 v54, v3, v49, v54
	v_mul_f16_sdwa v49, v3, v49 dst_sel:DWORD dst_unused:UNUSED_PAD src0_sel:WORD_1 src1_sel:DWORD
	ds_read2_b32 v[60:61], v39 offset0:118 offset1:135
	v_fma_f16 v3, v3, v93, -v49
	v_mul_f16_sdwa v49, v4, v95 dst_sel:DWORD dst_unused:UNUSED_PAD src0_sel:WORD_1 src1_sel:DWORD
	s_waitcnt lgkmcnt(1)
	v_lshrrev_b32_e32 v96, 16, v58
	v_fma_f16 v49, v4, v51, v49
	v_mul_f16_sdwa v51, v4, v51 dst_sel:DWORD dst_unused:UNUSED_PAD src0_sel:WORD_1 src1_sel:DWORD
	ds_read2_b32 v[62:63], v72 offset0:136 offset1:153
	v_fma_f16 v4, v4, v95, -v51
	v_mul_f16_sdwa v51, v5, v96 dst_sel:DWORD dst_unused:UNUSED_PAD src0_sel:WORD_1 src1_sel:DWORD
	v_lshrrev_b32_e32 v97, 16, v55
	v_fma_f16 v51, v5, v58, v51
	v_mul_f16_sdwa v58, v5, v58 dst_sel:DWORD dst_unused:UNUSED_PAD src0_sel:WORD_1 src1_sel:DWORD
	v_fma_f16 v5, v5, v96, -v58
	v_mul_f16_sdwa v58, v6, v97 dst_sel:DWORD dst_unused:UNUSED_PAD src0_sel:WORD_1 src1_sel:DWORD
	s_waitcnt lgkmcnt(1)
	v_lshrrev_b32_e32 v98, 16, v60
	v_fma_f16 v58, v6, v55, v58
	v_mul_f16_sdwa v55, v6, v55 dst_sel:DWORD dst_unused:UNUSED_PAD src0_sel:WORD_1 src1_sel:DWORD
	ds_read2_b32 v[64:65], v39 offset0:50 offset1:67
	v_fma_f16 v6, v6, v97, -v55
	v_mul_f16_sdwa v55, v7, v98 dst_sel:DWORD dst_unused:UNUSED_PAD src0_sel:WORD_1 src1_sel:DWORD
	s_waitcnt lgkmcnt(1)
	v_lshrrev_b32_e32 v100, 16, v62
	v_fma_f16 v55, v7, v60, v55
	v_mul_f16_sdwa v60, v7, v60 dst_sel:DWORD dst_unused:UNUSED_PAD src0_sel:WORD_1 src1_sel:DWORD
	v_fma_f16 v7, v7, v98, -v60
	v_mul_f16_sdwa v60, v8, v100 dst_sel:DWORD dst_unused:UNUSED_PAD src0_sel:WORD_1 src1_sel:DWORD
	v_lshrrev_b32_e32 v101, 16, v59
	v_fma_f16 v60, v8, v62, v60
	v_mul_f16_sdwa v62, v8, v62 dst_sel:DWORD dst_unused:UNUSED_PAD src0_sel:WORD_1 src1_sel:DWORD
	v_fma_f16 v8, v8, v100, -v62
	v_mul_f16_sdwa v62, v9, v101 dst_sel:DWORD dst_unused:UNUSED_PAD src0_sel:WORD_1 src1_sel:DWORD
	s_waitcnt lgkmcnt(0)
	v_lshrrev_b32_e32 v102, 16, v64
	v_fma_f16 v62, v9, v59, v62
	v_mul_f16_sdwa v59, v9, v59 dst_sel:DWORD dst_unused:UNUSED_PAD src0_sel:WORD_1 src1_sel:DWORD
	v_fma_f16 v9, v9, v101, -v59
	v_mul_f16_sdwa v59, v10, v102 dst_sel:DWORD dst_unused:UNUSED_PAD src0_sel:WORD_1 src1_sel:DWORD
	v_lshrrev_b32_e32 v103, 16, v61
	v_fma_f16 v59, v10, v64, v59
	v_mul_f16_sdwa v64, v10, v64 dst_sel:DWORD dst_unused:UNUSED_PAD src0_sel:WORD_1 src1_sel:DWORD
	v_fma_f16 v10, v10, v102, -v64
	v_mul_f16_sdwa v64, v11, v103 dst_sel:DWORD dst_unused:UNUSED_PAD src0_sel:WORD_1 src1_sel:DWORD
	v_lshrrev_b32_e32 v109, 16, v63
	v_fma_f16 v64, v11, v61, v64
	v_mul_f16_sdwa v61, v11, v61 dst_sel:DWORD dst_unused:UNUSED_PAD src0_sel:WORD_1 src1_sel:DWORD
	ds_read_b32 v107, v72 offset:1632
	v_fma_f16 v11, v11, v103, -v61
	v_mul_f16_sdwa v61, v12, v109 dst_sel:DWORD dst_unused:UNUSED_PAD src0_sel:WORD_1 src1_sel:DWORD
	v_lshrrev_b32_e32 v110, 16, v46
	v_fma_f16 v61, v12, v63, v61
	v_mul_f16_sdwa v63, v12, v63 dst_sel:DWORD dst_unused:UNUSED_PAD src0_sel:WORD_1 src1_sel:DWORD
	v_fma_f16 v12, v12, v109, -v63
	v_mul_f16_sdwa v63, v13, v110 dst_sel:DWORD dst_unused:UNUSED_PAD src0_sel:WORD_1 src1_sel:DWORD
	v_lshrrev_b32_e32 v111, 16, v65
	v_fma_f16 v63, v13, v46, v63
	v_mul_f16_sdwa v46, v13, v46 dst_sel:DWORD dst_unused:UNUSED_PAD src0_sel:WORD_1 src1_sel:DWORD
	v_add_f16_e32 v90, v53, v66
	v_fma_f16 v13, v13, v110, -v46
	v_mul_f16_sdwa v46, v14, v111 dst_sel:DWORD dst_unused:UNUSED_PAD src0_sel:WORD_1 src1_sel:DWORD
	v_fma_f16 v90, v90, -0.5, v40
	v_sub_f16_e32 v92, v43, v48
	s_mov_b32 s1, 0xbb9c
	s_movk_i32 s3, 0x3b9c
	s_waitcnt lgkmcnt(0)
	v_lshrrev_b32_e32 v112, 16, v107
	v_fma_f16 v46, v14, v65, v46
	v_mul_f16_sdwa v65, v14, v65 dst_sel:DWORD dst_unused:UNUSED_PAD src0_sel:WORD_1 src1_sel:DWORD
	v_fma_f16 v93, v92, s1, v90
	v_sub_f16_e32 v95, v44, v47
	s_mov_b32 s0, 0xb8b4
	v_sub_f16_e32 v96, v113, v53
	v_sub_f16_e32 v97, v67, v66
	v_fma_f16 v90, v92, s3, v90
	s_movk_i32 s4, 0x38b4
	v_fma_f16 v14, v14, v111, -v65
	v_mul_f16_sdwa v65, v15, v112 dst_sel:DWORD dst_unused:UNUSED_PAD src0_sel:WORD_1 src1_sel:DWORD
	v_mul_f16_sdwa v70, v15, v107 dst_sel:DWORD dst_unused:UNUSED_PAD src0_sel:WORD_1 src1_sel:DWORD
	v_fma_f16 v93, v95, s0, v93
	v_add_f16_e32 v96, v96, v97
	s_movk_i32 s2, 0x34f2
	v_fma_f16 v90, v95, s4, v90
	v_fma_f16 v65, v15, v107, v65
	v_fma_f16 v15, v15, v112, -v70
	v_add_f16_e32 v70, v40, v113
	v_fma_f16 v93, v96, s2, v93
	v_fma_f16 v90, v96, s2, v90
	v_add_f16_e32 v96, v113, v67
	v_lshrrev_b32_e32 v52, 16, v40
	v_add_f16_e32 v70, v70, v53
	v_fma_f16 v40, v96, -0.5, v40
	v_add_f16_e32 v70, v70, v66
	v_fma_f16 v96, v95, s3, v40
	v_sub_f16_e32 v97, v53, v113
	v_sub_f16_e32 v98, v66, v67
	v_fma_f16 v40, v95, s1, v40
	v_add_f16_e32 v95, v44, v47
	v_add_f16_e32 v70, v70, v67
	v_fma_f16 v96, v92, s0, v96
	v_add_f16_e32 v97, v97, v98
	v_fma_f16 v40, v92, s4, v40
	v_fma_f16 v95, v95, -0.5, v52
	v_sub_f16_e32 v67, v113, v67
	v_fma_f16 v96, v97, s2, v96
	v_fma_f16 v40, v97, s2, v40
	;; [unrolled: 1-line block ×3, first 2 shown]
	v_sub_f16_e32 v53, v53, v66
	v_fma_f16 v66, v53, s4, v97
	v_sub_f16_e32 v97, v43, v44
	v_sub_f16_e32 v98, v48, v47
	v_fma_f16 v95, v67, s1, v95
	v_add_f16_e32 v92, v52, v43
	v_add_f16_e32 v97, v97, v98
	v_fma_f16 v95, v53, s0, v95
	v_add_f16_e32 v92, v92, v44
	v_fma_f16 v66, v97, s2, v66
	v_fma_f16 v95, v97, s2, v95
	v_add_f16_e32 v97, v43, v48
	v_add_f16_e32 v92, v92, v47
	v_fma_f16 v52, v97, -0.5, v52
	v_add_f16_e32 v92, v92, v48
	v_fma_f16 v97, v53, s1, v52
	v_sub_f16_e32 v43, v44, v43
	v_sub_f16_e32 v44, v47, v48
	v_add_f16_e32 v48, v50, v45
	v_fma_f16 v97, v67, s4, v97
	v_add_f16_e32 v43, v43, v44
	v_fma_f16 v47, v53, s3, v52
	v_fma_f16 v48, v48, -0.5, v41
	v_sub_f16_e32 v52, v0, v3
	v_fma_f16 v44, v43, s2, v97
	v_fma_f16 v47, v67, s0, v47
	v_fma_f16 v53, v52, s1, v48
	v_sub_f16_e32 v67, v1, v2
	v_sub_f16_e32 v97, v68, v50
	;; [unrolled: 1-line block ×3, first 2 shown]
	v_fma_f16 v48, v52, s3, v48
	v_fma_f16 v53, v67, s0, v53
	v_add_f16_e32 v97, v97, v98
	v_fma_f16 v48, v67, s4, v48
	v_fma_f16 v43, v43, s2, v47
	v_add_f16_e32 v47, v41, v68
	;; [unrolled: 3-line block ×3, first 2 shown]
	v_lshrrev_b32_e32 v69, 16, v41
	v_add_f16_e32 v47, v47, v50
	v_fma_f16 v41, v97, -0.5, v41
	v_add_f16_e32 v47, v47, v45
	v_fma_f16 v97, v67, s3, v41
	v_fma_f16 v41, v67, s1, v41
	v_add_f16_e32 v67, v1, v2
	v_add_f16_e32 v47, v47, v54
	v_sub_f16_e32 v98, v50, v68
	v_sub_f16_e32 v100, v45, v54
	v_fma_f16 v67, v67, -0.5, v69
	v_sub_f16_e32 v54, v68, v54
	v_fma_f16 v97, v52, s0, v97
	v_add_f16_e32 v98, v98, v100
	v_fma_f16 v41, v52, s4, v41
	v_fma_f16 v68, v54, s3, v67
	v_sub_f16_e32 v45, v50, v45
	ds_read2_b32 v[56:57], v72 offset0:34 offset1:51
	v_fma_f16 v97, v98, s2, v97
	v_fma_f16 v41, v98, s2, v41
	;; [unrolled: 1-line block ×3, first 2 shown]
	v_sub_f16_e32 v68, v0, v1
	v_sub_f16_e32 v98, v3, v2
	v_fma_f16 v67, v54, s1, v67
	v_add_f16_e32 v52, v69, v0
	v_add_f16_e32 v68, v68, v98
	v_fma_f16 v67, v45, s0, v67
	v_add_f16_e32 v52, v52, v1
	v_fma_f16 v50, v68, s2, v50
	v_fma_f16 v67, v68, s2, v67
	v_add_f16_e32 v68, v0, v3
	v_add_f16_e32 v52, v52, v2
	v_fma_f16 v68, v68, -0.5, v69
	v_add_f16_e32 v52, v52, v3
	v_fma_f16 v69, v45, s1, v68
	v_sub_f16_e32 v0, v1, v0
	v_sub_f16_e32 v1, v2, v3
	v_add_f16_e32 v3, v51, v58
	v_fma_f16 v69, v54, s4, v69
	v_add_f16_e32 v0, v0, v1
	v_fma_f16 v2, v45, s3, v68
	s_waitcnt lgkmcnt(0)
	v_fma_f16 v3, v3, -0.5, v56
	v_sub_f16_e32 v45, v4, v7
	v_fma_f16 v1, v0, s2, v69
	v_fma_f16 v2, v54, s0, v2
	;; [unrolled: 1-line block ×3, first 2 shown]
	v_sub_f16_e32 v68, v5, v6
	v_sub_f16_e32 v69, v49, v51
	;; [unrolled: 1-line block ×3, first 2 shown]
	v_fma_f16 v3, v45, s3, v3
	v_fma_f16 v54, v68, s0, v54
	v_add_f16_e32 v69, v69, v98
	v_fma_f16 v3, v68, s4, v3
	v_fma_f16 v54, v69, s2, v54
	;; [unrolled: 1-line block ×3, first 2 shown]
	v_add_f16_e32 v69, v49, v55
	v_lshrrev_b32_e32 v94, 16, v56
	v_fma_f16 v0, v0, s2, v2
	v_add_f16_e32 v2, v56, v49
	v_fma_f16 v56, v69, -0.5, v56
	v_add_f16_e32 v2, v2, v51
	v_fma_f16 v69, v68, s3, v56
	v_sub_f16_e32 v98, v51, v49
	v_sub_f16_e32 v100, v58, v55
	v_fma_f16 v56, v68, s1, v56
	v_add_f16_e32 v68, v5, v6
	v_add_f16_e32 v2, v2, v58
	v_fma_f16 v69, v45, s0, v69
	v_add_f16_e32 v98, v98, v100
	v_fma_f16 v45, v45, s4, v56
	v_fma_f16 v68, v68, -0.5, v94
	v_sub_f16_e32 v49, v49, v55
	v_add_f16_e32 v2, v2, v55
	v_fma_f16 v69, v98, s2, v69
	v_fma_f16 v45, v98, s2, v45
	;; [unrolled: 1-line block ×3, first 2 shown]
	v_sub_f16_e32 v51, v51, v58
	v_sub_f16_e32 v58, v4, v5
	;; [unrolled: 1-line block ×3, first 2 shown]
	v_fma_f16 v68, v49, s1, v68
	v_add_f16_e32 v56, v94, v4
	v_fma_f16 v55, v51, s4, v55
	v_add_f16_e32 v58, v58, v98
	;; [unrolled: 2-line block ×3, first 2 shown]
	v_fma_f16 v55, v58, s2, v55
	v_fma_f16 v58, v58, s2, v68
	v_add_f16_e32 v68, v4, v7
	v_add_f16_e32 v56, v56, v6
	v_fma_f16 v68, v68, -0.5, v94
	v_add_f16_e32 v56, v56, v7
	v_fma_f16 v94, v51, s1, v68
	v_sub_f16_e32 v4, v5, v4
	v_sub_f16_e32 v5, v6, v7
	v_fma_f16 v6, v51, s3, v68
	v_add_f16_e32 v7, v62, v59
	v_fma_f16 v94, v49, s4, v94
	v_add_f16_e32 v4, v4, v5
	v_fma_f16 v6, v49, s0, v6
	v_fma_f16 v7, v7, -0.5, v57
	v_sub_f16_e32 v49, v8, v11
	v_fma_f16 v5, v4, s2, v94
	v_fma_f16 v51, v49, s1, v7
	v_sub_f16_e32 v68, v9, v10
	v_sub_f16_e32 v94, v60, v62
	;; [unrolled: 1-line block ×3, first 2 shown]
	v_fma_f16 v7, v49, s3, v7
	v_fma_f16 v51, v68, s0, v51
	v_add_f16_e32 v94, v94, v98
	v_fma_f16 v7, v68, s4, v7
	v_fma_f16 v51, v94, s2, v51
	;; [unrolled: 1-line block ×3, first 2 shown]
	v_add_f16_e32 v94, v60, v64
	v_lshrrev_b32_e32 v99, 16, v57
	v_fma_f16 v4, v4, s2, v6
	v_add_f16_e32 v6, v57, v60
	v_fma_f16 v57, v94, -0.5, v57
	v_add_f16_e32 v6, v6, v62
	v_fma_f16 v94, v68, s3, v57
	v_fma_f16 v57, v68, s1, v57
	v_add_f16_e32 v68, v9, v10
	v_add_f16_e32 v6, v6, v59
	v_sub_f16_e32 v98, v62, v60
	v_sub_f16_e32 v100, v59, v64
	v_fma_f16 v68, v68, -0.5, v99
	v_sub_f16_e32 v60, v60, v64
	v_add_f16_e32 v6, v6, v64
	v_fma_f16 v94, v49, s0, v94
	v_add_f16_e32 v98, v98, v100
	v_fma_f16 v49, v49, s4, v57
	v_fma_f16 v64, v60, s3, v68
	v_sub_f16_e32 v59, v62, v59
	v_fma_f16 v94, v98, s2, v94
	v_fma_f16 v49, v98, s2, v49
	;; [unrolled: 1-line block ×3, first 2 shown]
	v_sub_f16_e32 v64, v8, v9
	v_sub_f16_e32 v98, v11, v10
	v_fma_f16 v68, v60, s1, v68
	v_add_f16_e32 v57, v99, v8
	v_add_f16_e32 v64, v64, v98
	v_fma_f16 v68, v59, s0, v68
	v_add_f16_e32 v57, v57, v9
	v_fma_f16 v62, v64, s2, v62
	v_fma_f16 v64, v64, s2, v68
	v_add_f16_e32 v68, v8, v11
	v_add_f16_e32 v57, v57, v10
	v_fma_f16 v68, v68, -0.5, v99
	v_add_f16_e32 v57, v57, v11
	v_fma_f16 v98, v59, s1, v68
	v_sub_f16_e32 v8, v9, v8
	v_sub_f16_e32 v9, v10, v11
	v_add_f16_e32 v11, v63, v46
	v_fma_f16 v98, v60, s4, v98
	v_add_f16_e32 v8, v8, v9
	v_fma_f16 v10, v59, s3, v68
	v_fma_f16 v11, v11, -0.5, v42
	v_sub_f16_e32 v59, v12, v15
	v_fma_f16 v9, v8, s2, v98
	v_fma_f16 v10, v60, s0, v10
	;; [unrolled: 1-line block ×3, first 2 shown]
	v_sub_f16_e32 v68, v13, v14
	v_sub_f16_e32 v98, v61, v63
	;; [unrolled: 1-line block ×3, first 2 shown]
	v_fma_f16 v11, v59, s3, v11
	v_fma_f16 v60, v68, s0, v60
	v_add_f16_e32 v98, v98, v99
	v_fma_f16 v11, v68, s4, v11
	v_fma_f16 v60, v98, s2, v60
	;; [unrolled: 1-line block ×3, first 2 shown]
	v_add_f16_e32 v98, v61, v65
	v_lshrrev_b32_e32 v108, 16, v42
	v_fma_f16 v8, v8, s2, v10
	v_add_f16_e32 v10, v42, v61
	v_fma_f16 v42, v98, -0.5, v42
	v_add_f16_e32 v10, v10, v63
	v_fma_f16 v98, v68, s3, v42
	v_fma_f16 v42, v68, s1, v42
	v_add_f16_e32 v68, v13, v14
	v_add_f16_e32 v10, v10, v46
	v_sub_f16_e32 v99, v63, v61
	v_sub_f16_e32 v100, v46, v65
	v_fma_f16 v68, v68, -0.5, v108
	v_sub_f16_e32 v61, v61, v65
	v_add_f16_e32 v10, v10, v65
	v_fma_f16 v98, v59, s0, v98
	v_add_f16_e32 v99, v99, v100
	v_fma_f16 v42, v59, s4, v42
	v_fma_f16 v65, v61, s3, v68
	v_sub_f16_e32 v46, v63, v46
	v_fma_f16 v98, v99, s2, v98
	v_fma_f16 v42, v99, s2, v42
	;; [unrolled: 1-line block ×3, first 2 shown]
	v_sub_f16_e32 v65, v12, v13
	v_sub_f16_e32 v99, v15, v14
	v_fma_f16 v68, v61, s1, v68
	v_add_f16_e32 v65, v65, v99
	v_fma_f16 v68, v46, s0, v68
	v_add_f16_e32 v59, v108, v12
	v_fma_f16 v63, v65, s2, v63
	v_fma_f16 v65, v65, s2, v68
	v_add_f16_e32 v68, v12, v15
	v_add_f16_e32 v59, v59, v13
	v_fma_f16 v68, v68, -0.5, v108
	v_add_f16_e32 v59, v59, v14
	v_fma_f16 v99, v46, s1, v68
	v_sub_f16_e32 v12, v13, v12
	v_sub_f16_e32 v13, v14, v15
	v_fma_f16 v14, v46, s3, v68
	v_fma_f16 v99, v61, s4, v99
	v_add_f16_e32 v12, v12, v13
	v_fma_f16 v14, v61, s0, v14
	v_add_f16_e32 v59, v59, v15
	v_fma_f16 v13, v12, s2, v99
	v_fma_f16 v12, v12, s2, v14
	v_pack_b32_f16 v14, v70, v92
	v_pack_b32_f16 v15, v93, v66
	s_waitcnt lgkmcnt(0)
	; wave barrier
	ds_write2_b32 v72, v14, v15 offset1:17
	v_pack_b32_f16 v14, v96, v44
	v_pack_b32_f16 v15, v40, v43
	ds_write2_b32 v72, v14, v15 offset0:34 offset1:51
	v_pack_b32_f16 v14, v90, v95
	v_pack_b32_f16 v15, v47, v52
	ds_write2_b32 v72, v14, v15 offset0:68 offset1:85
	;; [unrolled: 3-line block ×6, first 2 shown]
	v_pack_b32_f16 v0, v3, v58
	ds_write_b32 v104, v0 offset:952
	v_pack_b32_f16 v0, v6, v57
	v_pack_b32_f16 v1, v51, v62
	v_add_u32_e32 v2, 0x200, v105
	ds_write2_b32 v2, v0, v1 offset0:127 offset1:144
	v_pack_b32_f16 v0, v94, v9
	v_pack_b32_f16 v1, v49, v8
	v_add_u32_e32 v2, 0x400, v105
	ds_write2_b32 v2, v0, v1 offset0:33 offset1:50
	v_pack_b32_f16 v0, v7, v64
	ds_write_b32 v105, v0 offset:1292
	v_pack_b32_f16 v0, v10, v59
	v_pack_b32_f16 v1, v60, v63
	v_add_u32_e32 v2, 0x400, v106
	ds_write2_b32 v2, v0, v1 offset0:84 offset1:101
	v_pack_b32_f16 v0, v98, v13
	v_pack_b32_f16 v1, v42, v12
	ds_write2_b32 v2, v0, v1 offset0:118 offset1:135
	v_pack_b32_f16 v0, v11, v65
	ds_write_b32 v106, v0 offset:1632
	s_waitcnt lgkmcnt(0)
	; wave barrier
	s_waitcnt lgkmcnt(0)
	ds_read2_b32 v[0:1], v72 offset1:17
	ds_read2_b32 v[2:3], v72 offset0:68 offset1:85
	ds_read2_b32 v[4:5], v72 offset0:170 offset1:187
	;; [unrolled: 1-line block ×6, first 2 shown]
	s_waitcnt lgkmcnt(5)
	v_lshrrev_b32_e32 v49, 16, v3
	v_mul_f16_sdwa v94, v16, v49 dst_sel:DWORD dst_unused:UNUSED_PAD src0_sel:WORD_1 src1_sel:DWORD
	s_waitcnt lgkmcnt(4)
	v_lshrrev_b32_e32 v50, 16, v4
	v_fma_f16 v94, v16, v3, v94
	v_mul_f16_sdwa v3, v16, v3 dst_sel:DWORD dst_unused:UNUSED_PAD src0_sel:WORD_1 src1_sel:DWORD
	v_fma_f16 v3, v16, v49, -v3
	v_mul_f16_sdwa v16, v17, v50 dst_sel:DWORD dst_unused:UNUSED_PAD src0_sel:WORD_1 src1_sel:DWORD
	s_waitcnt lgkmcnt(3)
	v_lshrrev_b32_e32 v51, 16, v7
	v_fma_f16 v16, v17, v4, v16
	v_mul_f16_sdwa v4, v17, v4 dst_sel:DWORD dst_unused:UNUSED_PAD src0_sel:WORD_1 src1_sel:DWORD
	v_fma_f16 v4, v17, v50, -v4
	;; [unrolled: 6-line block ×4, first 2 shown]
	v_mul_f16_sdwa v19, v20, v54 dst_sel:DWORD dst_unused:UNUSED_PAD src0_sel:WORD_1 src1_sel:DWORD
	v_lshrrev_b32_e32 v55, 16, v5
	v_fma_f16 v19, v20, v10, v19
	v_mul_f16_sdwa v10, v20, v10 dst_sel:DWORD dst_unused:UNUSED_PAD src0_sel:WORD_1 src1_sel:DWORD
	v_fma_f16 v10, v20, v54, -v10
	v_mul_f16_sdwa v20, v21, v55 dst_sel:DWORD dst_unused:UNUSED_PAD src0_sel:WORD_1 src1_sel:DWORD
	s_waitcnt lgkmcnt(0)
	v_lshrrev_b32_e32 v56, 16, v12
	v_fma_f16 v20, v21, v5, v20
	v_mul_f16_sdwa v5, v21, v5 dst_sel:DWORD dst_unused:UNUSED_PAD src0_sel:WORD_1 src1_sel:DWORD
	ds_read2_b32 v[40:41], v72 offset0:204 offset1:221
	v_fma_f16 v5, v21, v55, -v5
	v_mul_f16_sdwa v21, v22, v56 dst_sel:DWORD dst_unused:UNUSED_PAD src0_sel:WORD_1 src1_sel:DWORD
	v_lshrrev_b32_e32 v57, 16, v9
	v_fma_f16 v21, v22, v12, v21
	v_mul_f16_sdwa v12, v22, v12 dst_sel:DWORD dst_unused:UNUSED_PAD src0_sel:WORD_1 src1_sel:DWORD
	v_fma_f16 v12, v22, v56, -v12
	v_mul_f16_sdwa v22, v23, v57 dst_sel:DWORD dst_unused:UNUSED_PAD src0_sel:WORD_1 src1_sel:DWORD
	v_lshrrev_b32_e32 v59, 16, v11
	v_fma_f16 v22, v23, v9, v22
	v_mul_f16_sdwa v9, v23, v9 dst_sel:DWORD dst_unused:UNUSED_PAD src0_sel:WORD_1 src1_sel:DWORD
	ds_read2_b32 v[42:43], v39 offset0:118 offset1:135
	v_fma_f16 v9, v23, v57, -v9
	v_mul_f16_sdwa v23, v24, v59 dst_sel:DWORD dst_unused:UNUSED_PAD src0_sel:WORD_1 src1_sel:DWORD
	s_waitcnt lgkmcnt(1)
	v_lshrrev_b32_e32 v60, 16, v40
	v_fma_f16 v23, v24, v11, v23
	v_mul_f16_sdwa v11, v24, v11 dst_sel:DWORD dst_unused:UNUSED_PAD src0_sel:WORD_1 src1_sel:DWORD
	ds_read2_b32 v[44:45], v72 offset0:136 offset1:153
	v_fma_f16 v11, v24, v59, -v11
	v_mul_f16_sdwa v24, v25, v60 dst_sel:DWORD dst_unused:UNUSED_PAD src0_sel:WORD_1 src1_sel:DWORD
	v_lshrrev_b32_e32 v61, 16, v13
	v_fma_f16 v24, v25, v40, v24
	v_mul_f16_sdwa v40, v25, v40 dst_sel:DWORD dst_unused:UNUSED_PAD src0_sel:WORD_1 src1_sel:DWORD
	v_fma_f16 v25, v25, v60, -v40
	v_mul_f16_sdwa v40, v26, v61 dst_sel:DWORD dst_unused:UNUSED_PAD src0_sel:WORD_1 src1_sel:DWORD
	s_waitcnt lgkmcnt(1)
	v_lshrrev_b32_e32 v62, 16, v42
	v_fma_f16 v40, v26, v13, v40
	v_mul_f16_sdwa v13, v26, v13 dst_sel:DWORD dst_unused:UNUSED_PAD src0_sel:WORD_1 src1_sel:DWORD
	ds_read2_b32 v[46:47], v39 offset0:50 offset1:67
	v_fma_f16 v13, v26, v61, -v13
	v_mul_f16_sdwa v26, v27, v62 dst_sel:DWORD dst_unused:UNUSED_PAD src0_sel:WORD_1 src1_sel:DWORD
	s_waitcnt lgkmcnt(1)
	v_lshrrev_b32_e32 v64, 16, v44
	v_fma_f16 v26, v27, v42, v26
	v_mul_f16_sdwa v42, v27, v42 dst_sel:DWORD dst_unused:UNUSED_PAD src0_sel:WORD_1 src1_sel:DWORD
	v_fma_f16 v27, v27, v62, -v42
	v_mul_f16_sdwa v42, v28, v64 dst_sel:DWORD dst_unused:UNUSED_PAD src0_sel:WORD_1 src1_sel:DWORD
	v_lshrrev_b32_e32 v65, 16, v41
	v_fma_f16 v42, v28, v44, v42
	v_mul_f16_sdwa v44, v28, v44 dst_sel:DWORD dst_unused:UNUSED_PAD src0_sel:WORD_1 src1_sel:DWORD
	v_fma_f16 v28, v28, v64, -v44
	v_mul_f16_sdwa v44, v29, v65 dst_sel:DWORD dst_unused:UNUSED_PAD src0_sel:WORD_1 src1_sel:DWORD
	s_waitcnt lgkmcnt(0)
	v_lshrrev_b32_e32 v66, 16, v46
	v_fma_f16 v44, v29, v41, v44
	v_mul_f16_sdwa v41, v29, v41 dst_sel:DWORD dst_unused:UNUSED_PAD src0_sel:WORD_1 src1_sel:DWORD
	v_fma_f16 v29, v29, v65, -v41
	v_mul_f16_sdwa v41, v30, v66 dst_sel:DWORD dst_unused:UNUSED_PAD src0_sel:WORD_1 src1_sel:DWORD
	v_lshrrev_b32_e32 v67, 16, v43
	v_fma_f16 v41, v30, v46, v41
	v_mul_f16_sdwa v46, v30, v46 dst_sel:DWORD dst_unused:UNUSED_PAD src0_sel:WORD_1 src1_sel:DWORD
	v_fma_f16 v30, v30, v66, -v46
	v_mul_f16_sdwa v46, v31, v67 dst_sel:DWORD dst_unused:UNUSED_PAD src0_sel:WORD_1 src1_sel:DWORD
	v_lshrrev_b32_e32 v70, 16, v45
	v_fma_f16 v46, v31, v43, v46
	v_mul_f16_sdwa v43, v31, v43 dst_sel:DWORD dst_unused:UNUSED_PAD src0_sel:WORD_1 src1_sel:DWORD
	ds_read_b32 v68, v72 offset:1632
	v_fma_f16 v31, v31, v67, -v43
	v_mul_f16_sdwa v43, v32, v70 dst_sel:DWORD dst_unused:UNUSED_PAD src0_sel:WORD_1 src1_sel:DWORD
	v_lshrrev_b32_e32 v90, 16, v6
	v_fma_f16 v43, v32, v45, v43
	v_mul_f16_sdwa v45, v32, v45 dst_sel:DWORD dst_unused:UNUSED_PAD src0_sel:WORD_1 src1_sel:DWORD
	v_fma_f16 v32, v32, v70, -v45
	v_mul_f16_sdwa v45, v33, v90 dst_sel:DWORD dst_unused:UNUSED_PAD src0_sel:WORD_1 src1_sel:DWORD
	v_lshrrev_b32_e32 v92, 16, v47
	v_fma_f16 v45, v33, v6, v45
	v_mul_f16_sdwa v6, v33, v6 dst_sel:DWORD dst_unused:UNUSED_PAD src0_sel:WORD_1 src1_sel:DWORD
	v_add_f16_e32 v50, v16, v17
	v_fma_f16 v6, v33, v90, -v6
	v_mul_f16_sdwa v33, v34, v92 dst_sel:DWORD dst_unused:UNUSED_PAD src0_sel:WORD_1 src1_sel:DWORD
	v_fma_f16 v50, v50, -0.5, v0
	v_sub_f16_e32 v51, v3, v8
	s_waitcnt lgkmcnt(0)
	v_lshrrev_b32_e32 v93, 16, v68
	v_fma_f16 v33, v34, v47, v33
	v_mul_f16_sdwa v47, v34, v47 dst_sel:DWORD dst_unused:UNUSED_PAD src0_sel:WORD_1 src1_sel:DWORD
	v_fma_f16 v52, v51, s1, v50
	v_sub_f16_e32 v54, v4, v7
	v_sub_f16_e32 v55, v94, v16
	;; [unrolled: 1-line block ×3, first 2 shown]
	v_fma_f16 v50, v51, s3, v50
	v_fma_f16 v34, v34, v92, -v47
	v_mul_f16_sdwa v47, v35, v93 dst_sel:DWORD dst_unused:UNUSED_PAD src0_sel:WORD_1 src1_sel:DWORD
	v_mul_f16_sdwa v49, v35, v68 dst_sel:DWORD dst_unused:UNUSED_PAD src0_sel:WORD_1 src1_sel:DWORD
	v_fma_f16 v52, v54, s0, v52
	v_add_f16_e32 v55, v55, v56
	v_fma_f16 v50, v54, s4, v50
	v_fma_f16 v47, v35, v68, v47
	v_fma_f16 v35, v35, v93, -v49
	v_add_f16_e32 v49, v0, v94
	v_fma_f16 v52, v55, s2, v52
	v_fma_f16 v50, v55, s2, v50
	v_add_f16_e32 v55, v94, v18
	v_lshrrev_b32_e32 v48, 16, v0
	v_add_f16_e32 v49, v49, v16
	v_fma_f16 v0, v55, -0.5, v0
	v_add_f16_e32 v49, v49, v17
	v_fma_f16 v55, v54, s3, v0
	v_sub_f16_e32 v56, v16, v94
	v_sub_f16_e32 v57, v17, v18
	v_fma_f16 v0, v54, s1, v0
	v_add_f16_e32 v54, v4, v7
	v_add_f16_e32 v49, v49, v18
	v_fma_f16 v55, v51, s0, v55
	v_add_f16_e32 v56, v56, v57
	v_fma_f16 v0, v51, s4, v0
	v_fma_f16 v54, v54, -0.5, v48
	v_sub_f16_e32 v18, v94, v18
	v_fma_f16 v55, v56, s2, v55
	v_fma_f16 v0, v56, s2, v0
	;; [unrolled: 1-line block ×3, first 2 shown]
	v_sub_f16_e32 v16, v16, v17
	v_fma_f16 v17, v16, s4, v56
	v_sub_f16_e32 v56, v3, v4
	v_sub_f16_e32 v57, v8, v7
	v_fma_f16 v54, v18, s1, v54
	v_add_f16_e32 v51, v48, v3
	v_add_f16_e32 v56, v56, v57
	v_fma_f16 v54, v16, s0, v54
	v_add_f16_e32 v51, v51, v4
	v_fma_f16 v17, v56, s2, v17
	v_fma_f16 v54, v56, s2, v54
	v_add_f16_e32 v56, v3, v8
	v_add_f16_e32 v51, v51, v7
	v_fma_f16 v48, v56, -0.5, v48
	v_add_f16_e32 v51, v51, v8
	v_fma_f16 v56, v16, s1, v48
	v_sub_f16_e32 v3, v4, v3
	v_sub_f16_e32 v4, v7, v8
	v_add_f16_e32 v8, v20, v21
	v_fma_f16 v56, v18, s4, v56
	v_add_f16_e32 v3, v3, v4
	v_fma_f16 v7, v16, s3, v48
	v_fma_f16 v8, v8, -0.5, v1
	v_sub_f16_e32 v16, v10, v9
	v_fma_f16 v4, v3, s2, v56
	v_fma_f16 v7, v18, s0, v7
	;; [unrolled: 1-line block ×3, first 2 shown]
	v_sub_f16_e32 v48, v5, v12
	v_sub_f16_e32 v56, v19, v20
	;; [unrolled: 1-line block ×3, first 2 shown]
	v_fma_f16 v8, v16, s3, v8
	v_fma_f16 v18, v48, s0, v18
	v_add_f16_e32 v56, v56, v57
	v_fma_f16 v8, v48, s4, v8
	v_fma_f16 v18, v56, s2, v18
	;; [unrolled: 1-line block ×3, first 2 shown]
	v_add_f16_e32 v56, v19, v22
	v_lshrrev_b32_e32 v53, 16, v1
	v_fma_f16 v3, v3, s2, v7
	v_add_f16_e32 v7, v1, v19
	v_fma_f16 v1, v56, -0.5, v1
	v_add_f16_e32 v7, v7, v20
	v_fma_f16 v56, v48, s3, v1
	v_fma_f16 v1, v48, s1, v1
	v_add_f16_e32 v48, v5, v12
	v_add_f16_e32 v7, v7, v21
	v_sub_f16_e32 v57, v20, v19
	v_sub_f16_e32 v59, v21, v22
	v_fma_f16 v48, v48, -0.5, v53
	v_sub_f16_e32 v19, v19, v22
	v_add_f16_e32 v7, v7, v22
	v_fma_f16 v56, v16, s0, v56
	v_add_f16_e32 v57, v57, v59
	v_fma_f16 v1, v16, s4, v1
	v_fma_f16 v22, v19, s3, v48
	v_sub_f16_e32 v20, v20, v21
	ds_read2_b32 v[14:15], v72 offset0:34 offset1:51
	v_fma_f16 v56, v57, s2, v56
	v_fma_f16 v1, v57, s2, v1
	;; [unrolled: 1-line block ×3, first 2 shown]
	v_sub_f16_e32 v22, v10, v5
	v_sub_f16_e32 v57, v9, v12
	v_fma_f16 v48, v19, s1, v48
	v_add_f16_e32 v16, v53, v10
	v_add_f16_e32 v22, v22, v57
	v_fma_f16 v48, v20, s0, v48
	v_add_f16_e32 v16, v16, v5
	v_fma_f16 v21, v22, s2, v21
	v_fma_f16 v22, v22, s2, v48
	v_add_f16_e32 v48, v10, v9
	v_add_f16_e32 v16, v16, v12
	v_fma_f16 v48, v48, -0.5, v53
	v_add_f16_e32 v16, v16, v9
	v_fma_f16 v53, v20, s1, v48
	v_sub_f16_e32 v5, v5, v10
	v_sub_f16_e32 v9, v12, v9
	v_fma_f16 v10, v20, s3, v48
	v_add_f16_e32 v12, v24, v40
	v_fma_f16 v53, v19, s4, v53
	v_add_f16_e32 v5, v5, v9
	v_fma_f16 v10, v19, s0, v10
	s_waitcnt lgkmcnt(0)
	v_fma_f16 v12, v12, -0.5, v14
	v_sub_f16_e32 v19, v11, v27
	v_fma_f16 v9, v5, s2, v53
	v_fma_f16 v20, v19, s1, v12
	v_sub_f16_e32 v48, v25, v13
	v_sub_f16_e32 v53, v23, v24
	;; [unrolled: 1-line block ×3, first 2 shown]
	v_fma_f16 v12, v19, s3, v12
	v_fma_f16 v20, v48, s0, v20
	v_add_f16_e32 v53, v53, v57
	v_fma_f16 v12, v48, s4, v12
	v_fma_f16 v20, v53, s2, v20
	v_fma_f16 v12, v53, s2, v12
	v_add_f16_e32 v53, v23, v26
	v_lshrrev_b32_e32 v58, 16, v14
	v_fma_f16 v5, v5, s2, v10
	v_add_f16_e32 v10, v14, v23
	v_fma_f16 v14, v53, -0.5, v14
	v_add_f16_e32 v10, v10, v24
	v_fma_f16 v53, v48, s3, v14
	v_sub_f16_e32 v57, v24, v23
	v_sub_f16_e32 v59, v40, v26
	v_fma_f16 v14, v48, s1, v14
	v_add_f16_e32 v48, v25, v13
	v_add_f16_e32 v10, v10, v40
	v_fma_f16 v53, v19, s0, v53
	v_add_f16_e32 v57, v57, v59
	v_fma_f16 v14, v19, s4, v14
	v_fma_f16 v48, v48, -0.5, v58
	v_sub_f16_e32 v23, v23, v26
	v_add_f16_e32 v10, v10, v26
	v_fma_f16 v53, v57, s2, v53
	v_fma_f16 v14, v57, s2, v14
	;; [unrolled: 1-line block ×3, first 2 shown]
	v_sub_f16_e32 v24, v24, v40
	v_sub_f16_e32 v40, v11, v25
	;; [unrolled: 1-line block ×3, first 2 shown]
	v_fma_f16 v48, v23, s1, v48
	v_fma_f16 v26, v24, s4, v26
	v_add_f16_e32 v40, v40, v57
	v_fma_f16 v48, v24, s0, v48
	v_fma_f16 v26, v40, s2, v26
	;; [unrolled: 1-line block ×3, first 2 shown]
	v_add_f16_e32 v48, v11, v27
	v_add_f16_e32 v19, v58, v11
	v_fma_f16 v48, v48, -0.5, v58
	v_add_f16_e32 v19, v19, v25
	v_fma_f16 v57, v24, s1, v48
	v_fma_f16 v24, v24, s3, v48
	v_add_f16_e32 v19, v19, v13
	v_fma_f16 v57, v23, s4, v57
	v_sub_f16_e32 v11, v25, v11
	v_sub_f16_e32 v13, v13, v27
	v_fma_f16 v23, v23, s0, v24
	v_add_f16_e32 v24, v44, v41
	v_add_f16_e32 v11, v11, v13
	v_fma_f16 v24, v24, -0.5, v15
	v_sub_f16_e32 v25, v28, v31
	v_add_f16_e32 v19, v19, v27
	v_fma_f16 v13, v11, s2, v57
	v_fma_f16 v27, v25, s1, v24
	v_sub_f16_e32 v48, v29, v30
	v_sub_f16_e32 v57, v42, v44
	;; [unrolled: 1-line block ×3, first 2 shown]
	v_fma_f16 v24, v25, s3, v24
	v_fma_f16 v27, v48, s0, v27
	v_add_f16_e32 v57, v57, v58
	v_fma_f16 v24, v48, s4, v24
	v_fma_f16 v27, v57, s2, v27
	;; [unrolled: 1-line block ×3, first 2 shown]
	v_add_f16_e32 v57, v42, v46
	v_lshrrev_b32_e32 v63, 16, v15
	v_fma_f16 v11, v11, s2, v23
	v_add_f16_e32 v23, v15, v42
	v_fma_f16 v15, v57, -0.5, v15
	v_add_f16_e32 v23, v23, v44
	v_fma_f16 v57, v48, s3, v15
	v_fma_f16 v15, v48, s1, v15
	v_add_f16_e32 v48, v29, v30
	v_add_f16_e32 v23, v23, v41
	v_sub_f16_e32 v58, v44, v42
	v_sub_f16_e32 v59, v41, v46
	v_fma_f16 v48, v48, -0.5, v63
	v_sub_f16_e32 v42, v42, v46
	v_add_f16_e32 v23, v23, v46
	v_fma_f16 v57, v25, s0, v57
	v_add_f16_e32 v58, v58, v59
	v_fma_f16 v15, v25, s4, v15
	v_fma_f16 v46, v42, s3, v48
	v_sub_f16_e32 v41, v44, v41
	v_fma_f16 v57, v58, s2, v57
	v_fma_f16 v15, v58, s2, v15
	;; [unrolled: 1-line block ×3, first 2 shown]
	v_sub_f16_e32 v46, v28, v29
	v_sub_f16_e32 v58, v31, v30
	v_fma_f16 v48, v42, s1, v48
	v_add_f16_e32 v25, v63, v28
	v_add_f16_e32 v46, v46, v58
	v_fma_f16 v48, v41, s0, v48
	v_add_f16_e32 v25, v25, v29
	v_fma_f16 v44, v46, s2, v44
	v_fma_f16 v46, v46, s2, v48
	v_add_f16_e32 v48, v28, v31
	v_add_f16_e32 v25, v25, v30
	v_fma_f16 v48, v48, -0.5, v63
	v_add_f16_e32 v25, v25, v31
	v_fma_f16 v58, v41, s1, v48
	v_sub_f16_e32 v28, v29, v28
	v_sub_f16_e32 v29, v30, v31
	v_add_f16_e32 v31, v45, v33
	v_fma_f16 v58, v42, s4, v58
	v_add_f16_e32 v28, v28, v29
	v_fma_f16 v30, v41, s3, v48
	v_fma_f16 v31, v31, -0.5, v2
	v_sub_f16_e32 v41, v32, v35
	v_fma_f16 v29, v28, s2, v58
	v_fma_f16 v30, v42, s0, v30
	;; [unrolled: 1-line block ×3, first 2 shown]
	v_sub_f16_e32 v48, v6, v34
	v_sub_f16_e32 v58, v43, v45
	v_sub_f16_e32 v59, v47, v33
	v_fma_f16 v31, v41, s3, v31
	v_fma_f16 v42, v48, s0, v42
	v_add_f16_e32 v58, v58, v59
	v_fma_f16 v31, v48, s4, v31
	v_fma_f16 v42, v58, s2, v42
	;; [unrolled: 1-line block ×3, first 2 shown]
	v_add_f16_e32 v58, v43, v47
	v_lshrrev_b32_e32 v69, 16, v2
	v_fma_f16 v28, v28, s2, v30
	v_add_f16_e32 v30, v2, v43
	v_fma_f16 v2, v58, -0.5, v2
	v_add_f16_e32 v30, v30, v45
	v_fma_f16 v58, v48, s3, v2
	v_fma_f16 v2, v48, s1, v2
	v_add_f16_e32 v48, v6, v34
	v_add_f16_e32 v30, v30, v33
	v_sub_f16_e32 v59, v45, v43
	v_sub_f16_e32 v60, v33, v47
	v_fma_f16 v48, v48, -0.5, v69
	v_sub_f16_e32 v43, v43, v47
	v_add_f16_e32 v30, v30, v47
	v_fma_f16 v58, v41, s0, v58
	v_add_f16_e32 v59, v59, v60
	v_fma_f16 v2, v41, s4, v2
	v_fma_f16 v47, v43, s3, v48
	v_sub_f16_e32 v33, v45, v33
	v_fma_f16 v58, v59, s2, v58
	v_fma_f16 v2, v59, s2, v2
	;; [unrolled: 1-line block ×3, first 2 shown]
	v_sub_f16_e32 v47, v32, v6
	v_sub_f16_e32 v59, v35, v34
	v_fma_f16 v48, v43, s1, v48
	v_add_f16_e32 v47, v47, v59
	v_fma_f16 v48, v33, s0, v48
	v_fma_f16 v45, v47, s2, v45
	;; [unrolled: 1-line block ×3, first 2 shown]
	v_add_f16_e32 v48, v32, v35
	v_add_f16_e32 v41, v69, v32
	v_fma_f16 v48, v48, -0.5, v69
	v_add_f16_e32 v41, v41, v6
	v_fma_f16 v59, v33, s1, v48
	v_sub_f16_e32 v6, v6, v32
	v_sub_f16_e32 v32, v34, v35
	v_fma_f16 v33, v33, s3, v48
	v_fma_f16 v59, v43, s4, v59
	v_add_f16_e32 v6, v6, v32
	v_fma_f16 v33, v43, s0, v33
	v_fma_f16 v32, v6, s2, v59
	;; [unrolled: 1-line block ×3, first 2 shown]
	v_pack_b32_f16 v33, v49, v51
	v_pack_b32_f16 v4, v55, v4
	;; [unrolled: 1-line block ×3, first 2 shown]
	ds_write_b32 v72, v33
	v_pack_b32_f16 v0, v0, v3
	ds_write2_b32 v91, v4, v9 offset0:170 offset1:187
	v_pack_b32_f16 v1, v1, v5
	v_add_u32_e32 v4, 0x200, v91
	v_pack_b32_f16 v3, v50, v54
	ds_write2_b32 v4, v0, v1 offset0:127 offset1:144
	v_pack_b32_f16 v0, v8, v22
	v_add_u32_e32 v1, 0x400, v91
	v_pack_b32_f16 v7, v7, v16
	ds_write2_b32 v1, v3, v0 offset0:84 offset1:101
	v_pack_b32_f16 v0, v10, v19
	v_pack_b32_f16 v17, v52, v17
	;; [unrolled: 1-line block ×3, first 2 shown]
	ds_write2_b32 v91, v7, v0 offset0:17 offset1:34
	v_pack_b32_f16 v0, v20, v26
	v_pack_b32_f16 v1, v53, v13
	ds_write2_b32 v91, v17, v16 offset0:85 offset1:102
	ds_write2_b32 v164, v0, v1 offset0:85 offset1:170
	v_pack_b32_f16 v0, v14, v11
	v_pack_b32_f16 v1, v12, v40
	v_add_u32_e32 v3, 0x200, v164
	ds_write2_b32 v3, v0, v1 offset0:127 offset1:212
	v_pack_b32_f16 v0, v23, v25
	v_add_f16_e32 v41, v41, v34
	ds_write_b32 v91, v0 offset:204
	v_pack_b32_f16 v0, v27, v44
	v_pack_b32_f16 v1, v57, v29
	v_add_f16_e32 v41, v41, v35
	ds_write2_b32 v163, v0, v1 offset0:85 offset1:170
	v_pack_b32_f16 v0, v15, v28
	v_pack_b32_f16 v1, v24, v46
	v_add_u32_e32 v3, 0x200, v163
	ds_write2_b32 v3, v0, v1 offset0:127 offset1:212
	v_pack_b32_f16 v0, v30, v41
	ds_write_b32 v91, v0 offset:272
	v_pack_b32_f16 v0, v42, v45
	v_pack_b32_f16 v1, v58, v32
	ds_write2_b32 v162, v0, v1 offset0:85 offset1:170
	v_pack_b32_f16 v0, v2, v6
	v_pack_b32_f16 v1, v31, v47
	v_add_u32_e32 v2, 0x200, v162
	ds_write2_b32 v2, v0, v1 offset0:127 offset1:212
	s_waitcnt lgkmcnt(0)
	; wave barrier
	s_waitcnt lgkmcnt(0)
	ds_read2_b32 v[0:1], v72 offset1:25
	s_mov_b32 s12, 0xace01346
	s_mov_b32 s13, 0x3f634679
	v_mad_u64_u32 v[3:4], s[0:1], s10, v38, 0
	s_waitcnt lgkmcnt(0)
	v_lshrrev_b32_e32 v9, 16, v0
	v_mul_f16_sdwa v2, v89, v9 dst_sel:DWORD dst_unused:UNUSED_PAD src0_sel:WORD_1 src1_sel:DWORD
	v_fma_f16 v2, v89, v0, v2
	v_cvt_f32_f16_e32 v2, v2
	s_movk_i32 s15, 0x1ff
	s_movk_i32 s10, 0xffe
	v_mul_f16_sdwa v0, v89, v0 dst_sel:DWORD dst_unused:UNUSED_PAD src0_sel:WORD_1 src1_sel:DWORD
	v_cvt_f64_f32_e32 v[5:6], v2
	v_mov_b32_e32 v2, v4
	v_mad_u64_u32 v[7:8], s[0:1], s11, v38, v[2:3]
	v_mul_f64 v[5:6], v[5:6], s[12:13]
	v_fma_f16 v0, v89, v9, -v0
	v_mov_b32_e32 v4, v7
	v_cvt_f32_f16_e32 v0, v0
	s_movk_i32 s11, 0x40f
	s_mov_b32 s14, 0x8000
	v_lshlrev_b64 v[3:4], 2, v[3:4]
	buffer_load_dword v16, off, s[40:43], 0 offset:48 ; 4-byte Folded Reload
	v_and_or_b32 v2, v6, s15, v5
	v_cmp_ne_u32_e64 s[0:1], 0, v2
	v_cndmask_b32_e64 v2, 0, 1, s[0:1]
	v_lshrrev_b32_e32 v5, 8, v6
	v_bfe_u32 v7, v6, 20, 11
	v_and_or_b32 v5, v5, s10, v2
	v_sub_u32_e32 v8, 0x3f1, v7
	v_or_b32_e32 v2, 0x1000, v5
	v_med3_i32 v8, v8, 0, 13
	v_lshrrev_b32_e32 v10, v8, v2
	v_lshlrev_b32_e32 v8, v8, v10
	v_cmp_ne_u32_e64 s[0:1], v8, v2
	v_cndmask_b32_e64 v2, 0, 1, s[0:1]
	v_or_b32_e32 v2, v10, v2
	v_add_u32_e32 v10, 0xfffffc10, v7
	v_lshl_or_b32 v7, v10, 12, v5
	v_cmp_gt_i32_e64 s[0:1], 1, v10
	v_cndmask_b32_e64 v2, v7, v2, s[0:1]
	v_and_b32_e32 v7, 7, v2
	v_cmp_lt_i32_e64 s[0:1], 5, v7
	v_cmp_eq_u32_e64 s[2:3], 3, v7
	v_cvt_f64_f32_e32 v[7:8], v0
	v_lshrrev_b32_e32 v2, 2, v2
	s_or_b64 s[0:1], s[2:3], s[0:1]
	v_addc_co_u32_e64 v9, s[0:1], 0, v2, s[0:1]
	v_mul_f64 v[7:8], v[7:8], s[12:13]
	v_mov_b32_e32 v2, 0x7c00
	v_cmp_gt_i32_e64 s[0:1], 31, v10
	v_cndmask_b32_e64 v0, v2, v9, s[0:1]
	v_cmp_ne_u32_e64 s[0:1], 0, v5
	v_cndmask_b32_e64 v5, 0, 1, s[0:1]
	v_lshl_or_b32 v5, v5, 9, v2
	v_cmp_eq_u32_e64 s[0:1], s11, v10
	v_cndmask_b32_e64 v0, v0, v5, s[0:1]
	v_lshrrev_b32_e32 v5, 16, v6
	v_and_or_b32 v9, v5, s14, v0
	v_and_or_b32 v0, v8, s15, v7
	v_cmp_ne_u32_e64 s[0:1], 0, v0
	v_cndmask_b32_e64 v0, 0, 1, s[0:1]
	v_lshrrev_b32_e32 v5, 8, v8
	v_bfe_u32 v6, v8, 20, 11
	v_and_or_b32 v0, v5, s10, v0
	v_sub_u32_e32 v7, 0x3f1, v6
	v_or_b32_e32 v5, 0x1000, v0
	v_med3_i32 v7, v7, 0, 13
	v_lshrrev_b32_e32 v10, v7, v5
	v_lshlrev_b32_e32 v7, v7, v10
	v_cmp_ne_u32_e64 s[0:1], v7, v5
	v_cndmask_b32_e64 v5, 0, 1, s[0:1]
	v_add_u32_e32 v7, 0xfffffc10, v6
	v_or_b32_e32 v5, v10, v5
	v_lshl_or_b32 v6, v7, 12, v0
	v_cmp_gt_i32_e64 s[0:1], 1, v7
	v_cndmask_b32_e64 v5, v6, v5, s[0:1]
	v_and_b32_e32 v6, 7, v5
	v_cmp_lt_i32_e64 s[0:1], 5, v6
	v_cmp_eq_u32_e64 s[2:3], 3, v6
	v_lshrrev_b32_e32 v5, 2, v5
	s_or_b64 s[0:1], s[2:3], s[0:1]
	v_addc_co_u32_e64 v5, s[0:1], 0, v5, s[0:1]
	v_cmp_gt_i32_e64 s[0:1], 31, v7
	v_cndmask_b32_e64 v10, v2, v5, s[0:1]
	v_cmp_ne_u32_e64 s[0:1], 0, v0
	v_cndmask_b32_e64 v0, 0, 1, s[0:1]
	v_mad_u64_u32 v[5:6], s[0:1], s8, v71, 0
	v_lshl_or_b32 v0, v0, 9, v2
	v_cmp_eq_u32_e64 s[0:1], s11, v7
	v_cndmask_b32_e64 v10, v10, v0, s[0:1]
	v_mov_b32_e32 v0, v6
	v_mad_u64_u32 v[6:7], s[0:1], s9, v71, v[0:1]
	v_lshrrev_b32_e32 v0, 16, v1
	v_mul_f16_sdwa v7, v88, v0 dst_sel:DWORD dst_unused:UNUSED_PAD src0_sel:WORD_1 src1_sel:DWORD
	v_fma_f16 v7, v88, v1, v7
	v_cvt_f32_f16_e32 v7, v7
	v_lshrrev_b32_e32 v8, 16, v8
	v_and_or_b32 v10, v8, s14, v10
	v_and_b32_e32 v9, 0xffff, v9
	v_cvt_f64_f32_e32 v[7:8], v7
	v_lshl_or_b32 v9, v10, 16, v9
	v_mov_b32_e32 v10, s7
	v_add_co_u32_e64 v3, s[0:1], s6, v3
	v_mul_f64 v[7:8], v[7:8], s[12:13]
	v_lshlrev_b64 v[5:6], 2, v[5:6]
	v_addc_co_u32_e64 v4, s[0:1], v10, v4, s[0:1]
	v_add_co_u32_e64 v5, s[0:1], v3, v5
	v_addc_co_u32_e64 v6, s[0:1], v4, v6, s[0:1]
	v_and_or_b32 v7, v8, s15, v7
	v_mul_f16_sdwa v1, v88, v1 dst_sel:DWORD dst_unused:UNUSED_PAD src0_sel:WORD_1 src1_sel:DWORD
	v_cmp_ne_u32_e64 s[0:1], 0, v7
	v_fma_f16 v0, v88, v0, -v1
	global_store_dword v[5:6], v9, off
	v_cndmask_b32_e64 v7, 0, 1, s[0:1]
	v_lshrrev_b32_e32 v9, 8, v8
	v_bfe_u32 v10, v8, 20, 11
	v_cvt_f32_f16_e32 v0, v0
	v_and_or_b32 v7, v9, s10, v7
	v_sub_u32_e32 v11, 0x3f1, v10
	v_or_b32_e32 v9, 0x1000, v7
	v_med3_i32 v11, v11, 0, 13
	v_lshrrev_b32_e32 v12, v11, v9
	v_lshlrev_b32_e32 v11, v11, v12
	v_cvt_f64_f32_e32 v[0:1], v0
	v_cmp_ne_u32_e64 s[0:1], v11, v9
	v_cndmask_b32_e64 v9, 0, 1, s[0:1]
	v_add_u32_e32 v10, 0xfffffc10, v10
	v_or_b32_e32 v9, v12, v9
	v_lshl_or_b32 v11, v10, 12, v7
	v_cmp_gt_i32_e64 s[0:1], 1, v10
	v_cndmask_b32_e64 v9, v11, v9, s[0:1]
	v_mul_f64 v[0:1], v[0:1], s[12:13]
	v_and_b32_e32 v11, 7, v9
	v_cmp_lt_i32_e64 s[0:1], 5, v11
	v_cmp_eq_u32_e64 s[2:3], 3, v11
	v_lshrrev_b32_e32 v9, 2, v9
	s_or_b64 s[0:1], s[2:3], s[0:1]
	v_addc_co_u32_e64 v9, s[0:1], 0, v9, s[0:1]
	v_cmp_gt_i32_e64 s[0:1], 31, v10
	v_cndmask_b32_e64 v9, v2, v9, s[0:1]
	v_cmp_ne_u32_e64 s[0:1], 0, v7
	v_cndmask_b32_e64 v7, 0, 1, s[0:1]
	v_lshl_or_b32 v7, v7, 9, v2
	v_cmp_eq_u32_e64 s[0:1], s11, v10
	v_and_or_b32 v0, v1, s15, v0
	v_cndmask_b32_e64 v7, v9, v7, s[0:1]
	v_lshrrev_b32_e32 v8, 16, v8
	v_cmp_ne_u32_e64 s[0:1], 0, v0
	v_and_or_b32 v9, v8, s14, v7
	v_cndmask_b32_e64 v0, 0, 1, s[0:1]
	v_lshrrev_b32_e32 v7, 8, v1
	v_bfe_u32 v8, v1, 20, 11
	v_and_or_b32 v0, v7, s10, v0
	v_sub_u32_e32 v10, 0x3f1, v8
	v_or_b32_e32 v7, 0x1000, v0
	v_med3_i32 v10, v10, 0, 13
	v_lshrrev_b32_e32 v11, v10, v7
	v_lshlrev_b32_e32 v10, v10, v11
	v_cmp_ne_u32_e64 s[0:1], v10, v7
	v_cndmask_b32_e64 v7, 0, 1, s[0:1]
	v_add_u32_e32 v10, 0xfffffc10, v8
	v_or_b32_e32 v7, v11, v7
	v_lshl_or_b32 v8, v10, 12, v0
	v_cmp_gt_i32_e64 s[0:1], 1, v10
	v_cndmask_b32_e64 v7, v8, v7, s[0:1]
	v_and_b32_e32 v8, 7, v7
	v_cmp_lt_i32_e64 s[0:1], 5, v8
	v_cmp_eq_u32_e64 s[2:3], 3, v8
	v_lshrrev_b32_e32 v7, 2, v7
	s_or_b64 s[0:1], s[2:3], s[0:1]
	v_addc_co_u32_e64 v7, s[0:1], 0, v7, s[0:1]
	v_cmp_gt_i32_e64 s[0:1], 31, v10
	v_cndmask_b32_e64 v11, v2, v7, s[0:1]
	ds_read2_b32 v[7:8], v72 offset0:50 offset1:75
	v_cmp_ne_u32_e64 s[0:1], 0, v0
	v_cndmask_b32_e64 v0, 0, 1, s[0:1]
	v_lshl_or_b32 v0, v0, 9, v2
	v_cmp_eq_u32_e64 s[0:1], s11, v10
	v_cndmask_b32_e64 v0, v11, v0, s[0:1]
	v_lshrrev_b32_e32 v1, 16, v1
	s_waitcnt lgkmcnt(0)
	v_lshrrev_b32_e32 v11, 16, v7
	v_and_or_b32 v10, v1, s14, v0
	v_mul_f16_sdwa v0, v87, v11 dst_sel:DWORD dst_unused:UNUSED_PAD src0_sel:WORD_1 src1_sel:DWORD
	v_fma_f16 v0, v87, v7, v0
	v_cvt_f32_f16_e32 v0, v0
	v_and_b32_e32 v9, 0xffff, v9
	v_lshl_or_b32 v12, v10, 16, v9
	s_mul_i32 s0, s9, 25
	v_cvt_f64_f32_e32 v[0:1], v0
	s_mul_hi_u32 s1, s8, 25
	s_add_i32 s1, s1, s0
	s_mul_i32 s0, s8, 25
	v_mul_f64 v[9:10], v[0:1], s[12:13]
	s_lshl_b64 s[6:7], s[0:1], 2
	v_mov_b32_e32 v1, s7
	v_add_co_u32_e64 v5, s[0:1], s6, v5
	v_addc_co_u32_e64 v6, s[0:1], v6, v1, s[0:1]
	global_store_dword v[5:6], v12, off
	v_and_or_b32 v0, v10, s15, v9
	v_cmp_ne_u32_e64 s[0:1], 0, v0
	v_cndmask_b32_e64 v0, 0, 1, s[0:1]
	v_lshrrev_b32_e32 v9, 8, v10
	v_bfe_u32 v12, v10, 20, 11
	v_and_or_b32 v0, v9, s10, v0
	v_sub_u32_e32 v13, 0x3f1, v12
	v_or_b32_e32 v9, 0x1000, v0
	v_med3_i32 v13, v13, 0, 13
	v_lshrrev_b32_e32 v14, v13, v9
	v_lshlrev_b32_e32 v13, v13, v14
	v_mul_f16_sdwa v7, v87, v7 dst_sel:DWORD dst_unused:UNUSED_PAD src0_sel:WORD_1 src1_sel:DWORD
	v_cmp_ne_u32_e64 s[0:1], v13, v9
	v_fma_f16 v7, v87, v11, -v7
	v_cndmask_b32_e64 v9, 0, 1, s[0:1]
	v_add_u32_e32 v13, 0xfffffc10, v12
	v_cvt_f32_f16_e32 v7, v7
	v_or_b32_e32 v9, v14, v9
	v_lshl_or_b32 v12, v13, 12, v0
	v_cmp_gt_i32_e64 s[0:1], 1, v13
	v_cndmask_b32_e64 v9, v12, v9, s[0:1]
	v_and_b32_e32 v12, 7, v9
	v_cmp_lt_i32_e64 s[0:1], 5, v12
	v_cmp_eq_u32_e64 s[2:3], 3, v12
	v_cvt_f64_f32_e32 v[11:12], v7
	v_lshrrev_b32_e32 v9, 2, v9
	s_or_b64 s[0:1], s[2:3], s[0:1]
	v_addc_co_u32_e64 v7, s[0:1], 0, v9, s[0:1]
	v_mul_f64 v[11:12], v[11:12], s[12:13]
	v_cmp_gt_i32_e64 s[0:1], 31, v13
	v_cndmask_b32_e64 v7, v2, v7, s[0:1]
	v_cmp_ne_u32_e64 s[0:1], 0, v0
	v_cndmask_b32_e64 v0, 0, 1, s[0:1]
	v_lshl_or_b32 v0, v0, 9, v2
	v_cmp_eq_u32_e64 s[0:1], s11, v13
	v_cndmask_b32_e64 v0, v7, v0, s[0:1]
	v_lshrrev_b32_e32 v7, 16, v10
	v_and_or_b32 v0, v7, s14, v0
	v_and_or_b32 v7, v12, s15, v11
	v_cmp_ne_u32_e64 s[0:1], 0, v7
	v_cndmask_b32_e64 v7, 0, 1, s[0:1]
	v_lshrrev_b32_e32 v9, 8, v12
	v_bfe_u32 v10, v12, 20, 11
	v_and_or_b32 v7, v9, s10, v7
	v_sub_u32_e32 v11, 0x3f1, v10
	v_or_b32_e32 v9, 0x1000, v7
	v_med3_i32 v11, v11, 0, 13
	v_lshrrev_b32_e32 v13, v11, v9
	v_lshlrev_b32_e32 v11, v11, v13
	v_cmp_ne_u32_e64 s[0:1], v11, v9
	v_cndmask_b32_e64 v9, 0, 1, s[0:1]
	v_add_u32_e32 v11, 0xfffffc10, v10
	v_or_b32_e32 v9, v13, v9
	v_lshl_or_b32 v10, v11, 12, v7
	v_cmp_gt_i32_e64 s[0:1], 1, v11
	v_cndmask_b32_e64 v9, v10, v9, s[0:1]
	v_and_b32_e32 v10, 7, v9
	v_cmp_lt_i32_e64 s[0:1], 5, v10
	v_cmp_eq_u32_e64 s[2:3], 3, v10
	v_lshrrev_b32_e32 v9, 2, v9
	s_or_b64 s[0:1], s[2:3], s[0:1]
	v_addc_co_u32_e64 v9, s[0:1], 0, v9, s[0:1]
	v_cmp_gt_i32_e64 s[0:1], 31, v11
	v_lshrrev_b32_e32 v14, 16, v8
	v_cndmask_b32_e64 v13, v2, v9, s[0:1]
	v_mul_f16_sdwa v9, v86, v14 dst_sel:DWORD dst_unused:UNUSED_PAD src0_sel:WORD_1 src1_sel:DWORD
	v_fma_f16 v9, v86, v8, v9
	v_cvt_f32_f16_e32 v9, v9
	v_cmp_ne_u32_e64 s[0:1], 0, v7
	v_cndmask_b32_e64 v7, 0, 1, s[0:1]
	v_lshl_or_b32 v7, v7, 9, v2
	v_cvt_f64_f32_e32 v[9:10], v9
	v_cmp_eq_u32_e64 s[0:1], s11, v11
	v_cndmask_b32_e64 v7, v13, v7, s[0:1]
	v_lshrrev_b32_e32 v11, 16, v12
	v_mul_f64 v[9:10], v[9:10], s[12:13]
	v_and_or_b32 v7, v11, s14, v7
	v_and_b32_e32 v0, 0xffff, v0
	v_add_co_u32_e64 v5, s[0:1], s6, v5
	v_lshl_or_b32 v0, v7, 16, v0
	v_addc_co_u32_e64 v6, s[0:1], v6, v1, s[0:1]
	global_store_dword v[5:6], v0, off
	v_and_or_b32 v0, v10, s15, v9
	v_cmp_ne_u32_e64 s[0:1], 0, v0
	v_cndmask_b32_e64 v0, 0, 1, s[0:1]
	v_lshrrev_b32_e32 v7, 8, v10
	v_bfe_u32 v9, v10, 20, 11
	v_and_or_b32 v0, v7, s10, v0
	v_sub_u32_e32 v11, 0x3f1, v9
	v_or_b32_e32 v7, 0x1000, v0
	v_med3_i32 v11, v11, 0, 13
	v_lshrrev_b32_e32 v12, v11, v7
	v_lshlrev_b32_e32 v11, v11, v12
	v_mul_f16_sdwa v8, v86, v8 dst_sel:DWORD dst_unused:UNUSED_PAD src0_sel:WORD_1 src1_sel:DWORD
	v_cmp_ne_u32_e64 s[0:1], v11, v7
	v_fma_f16 v8, v86, v14, -v8
	v_cndmask_b32_e64 v7, 0, 1, s[0:1]
	v_add_u32_e32 v9, 0xfffffc10, v9
	v_cvt_f32_f16_e32 v8, v8
	v_or_b32_e32 v7, v12, v7
	v_lshl_or_b32 v11, v9, 12, v0
	v_cmp_gt_i32_e64 s[0:1], 1, v9
	v_cndmask_b32_e64 v7, v11, v7, s[0:1]
	v_and_b32_e32 v11, 7, v7
	v_cmp_lt_i32_e64 s[0:1], 5, v11
	v_cmp_eq_u32_e64 s[2:3], 3, v11
	v_lshrrev_b32_e32 v11, 2, v7
	v_cvt_f64_f32_e32 v[7:8], v8
	s_or_b64 s[0:1], s[2:3], s[0:1]
	v_addc_co_u32_e64 v11, s[0:1], 0, v11, s[0:1]
	v_mul_f64 v[7:8], v[7:8], s[12:13]
	v_cmp_gt_i32_e64 s[0:1], 31, v9
	v_cndmask_b32_e64 v11, v2, v11, s[0:1]
	v_cmp_ne_u32_e64 s[0:1], 0, v0
	v_cndmask_b32_e64 v0, 0, 1, s[0:1]
	v_lshl_or_b32 v0, v0, 9, v2
	v_cmp_eq_u32_e64 s[0:1], s11, v9
	v_cndmask_b32_e64 v0, v11, v0, s[0:1]
	v_and_or_b32 v7, v8, s15, v7
	v_lshrrev_b32_e32 v9, 16, v10
	v_cmp_ne_u32_e64 s[0:1], 0, v7
	v_and_or_b32 v0, v9, s14, v0
	v_cndmask_b32_e64 v7, 0, 1, s[0:1]
	v_lshrrev_b32_e32 v9, 8, v8
	v_bfe_u32 v10, v8, 20, 11
	v_and_or_b32 v7, v9, s10, v7
	v_sub_u32_e32 v11, 0x3f1, v10
	v_or_b32_e32 v9, 0x1000, v7
	v_med3_i32 v11, v11, 0, 13
	v_lshrrev_b32_e32 v12, v11, v9
	v_lshlrev_b32_e32 v11, v11, v12
	v_cmp_ne_u32_e64 s[0:1], v11, v9
	v_cndmask_b32_e64 v9, 0, 1, s[0:1]
	v_add_u32_e32 v13, 0xfffffc10, v10
	v_or_b32_e32 v9, v12, v9
	v_lshl_or_b32 v10, v13, 12, v7
	v_cmp_gt_i32_e64 s[0:1], 1, v13
	v_cndmask_b32_e64 v9, v10, v9, s[0:1]
	v_and_b32_e32 v10, 7, v9
	v_cmp_lt_i32_e64 s[0:1], 5, v10
	v_cmp_eq_u32_e64 s[2:3], 3, v10
	v_lshrrev_b32_e32 v11, 2, v9
	ds_read2_b32 v[9:10], v72 offset0:100 offset1:125
	s_or_b64 s[0:1], s[2:3], s[0:1]
	v_addc_co_u32_e64 v11, s[0:1], 0, v11, s[0:1]
	v_cmp_gt_i32_e64 s[0:1], 31, v13
	s_waitcnt lgkmcnt(0)
	v_lshrrev_b32_e32 v15, 16, v9
	v_cndmask_b32_e64 v14, v2, v11, s[0:1]
	v_mul_f16_sdwa v11, v85, v15 dst_sel:DWORD dst_unused:UNUSED_PAD src0_sel:WORD_1 src1_sel:DWORD
	v_fma_f16 v11, v85, v9, v11
	v_cvt_f32_f16_e32 v11, v11
	v_cmp_ne_u32_e64 s[0:1], 0, v7
	v_cndmask_b32_e64 v7, 0, 1, s[0:1]
	v_lshl_or_b32 v7, v7, 9, v2
	v_cvt_f64_f32_e32 v[11:12], v11
	v_cmp_eq_u32_e64 s[0:1], s11, v13
	v_cndmask_b32_e64 v7, v14, v7, s[0:1]
	v_lshrrev_b32_e32 v8, 16, v8
	v_and_or_b32 v13, v8, s14, v7
	v_mul_f64 v[7:8], v[11:12], s[12:13]
	v_and_b32_e32 v0, 0xffff, v0
	v_add_co_u32_e64 v5, s[0:1], s6, v5
	v_lshl_or_b32 v0, v13, 16, v0
	v_addc_co_u32_e64 v6, s[0:1], v6, v1, s[0:1]
	global_store_dword v[5:6], v0, off
	v_and_or_b32 v0, v8, s15, v7
	v_cmp_ne_u32_e64 s[0:1], 0, v0
	v_cndmask_b32_e64 v0, 0, 1, s[0:1]
	v_lshrrev_b32_e32 v7, 8, v8
	v_bfe_u32 v11, v8, 20, 11
	v_and_or_b32 v0, v7, s10, v0
	v_sub_u32_e32 v12, 0x3f1, v11
	v_or_b32_e32 v7, 0x1000, v0
	v_med3_i32 v12, v12, 0, 13
	v_lshrrev_b32_e32 v13, v12, v7
	v_lshlrev_b32_e32 v12, v12, v13
	v_cmp_ne_u32_e64 s[0:1], v12, v7
	v_mul_f16_sdwa v9, v85, v9 dst_sel:DWORD dst_unused:UNUSED_PAD src0_sel:WORD_1 src1_sel:DWORD
	v_cndmask_b32_e64 v7, 0, 1, s[0:1]
	v_fma_f16 v9, v85, v15, -v9
	v_or_b32_e32 v7, v13, v7
	v_add_u32_e32 v13, 0xfffffc10, v11
	v_cvt_f32_f16_e32 v9, v9
	v_lshl_or_b32 v11, v13, 12, v0
	v_cmp_gt_i32_e64 s[0:1], 1, v13
	v_cndmask_b32_e64 v7, v11, v7, s[0:1]
	v_and_b32_e32 v11, 7, v7
	v_cmp_lt_i32_e64 s[0:1], 5, v11
	v_cmp_eq_u32_e64 s[2:3], 3, v11
	v_cvt_f64_f32_e32 v[11:12], v9
	v_lshrrev_b32_e32 v7, 2, v7
	s_or_b64 s[0:1], s[2:3], s[0:1]
	v_addc_co_u32_e64 v7, s[0:1], 0, v7, s[0:1]
	v_mul_f64 v[11:12], v[11:12], s[12:13]
	v_cmp_gt_i32_e64 s[0:1], 31, v13
	v_cndmask_b32_e64 v7, v2, v7, s[0:1]
	v_cmp_ne_u32_e64 s[0:1], 0, v0
	v_cndmask_b32_e64 v0, 0, 1, s[0:1]
	v_lshl_or_b32 v0, v0, 9, v2
	v_cmp_eq_u32_e64 s[0:1], s11, v13
	v_cndmask_b32_e64 v0, v7, v0, s[0:1]
	v_lshrrev_b32_e32 v7, 16, v8
	v_and_or_b32 v0, v7, s14, v0
	v_and_or_b32 v7, v12, s15, v11
	v_cmp_ne_u32_e64 s[0:1], 0, v7
	v_cndmask_b32_e64 v7, 0, 1, s[0:1]
	v_lshrrev_b32_e32 v8, 8, v12
	v_bfe_u32 v9, v12, 20, 11
	v_and_or_b32 v7, v8, s10, v7
	v_sub_u32_e32 v11, 0x3f1, v9
	v_or_b32_e32 v8, 0x1000, v7
	v_med3_i32 v11, v11, 0, 13
	v_lshrrev_b32_e32 v13, v11, v8
	v_lshlrev_b32_e32 v11, v11, v13
	v_cmp_ne_u32_e64 s[0:1], v11, v8
	v_cndmask_b32_e64 v8, 0, 1, s[0:1]
	v_add_u32_e32 v9, 0xfffffc10, v9
	v_or_b32_e32 v8, v13, v8
	v_lshl_or_b32 v11, v9, 12, v7
	v_cmp_gt_i32_e64 s[0:1], 1, v9
	v_cndmask_b32_e64 v8, v11, v8, s[0:1]
	v_and_b32_e32 v11, 7, v8
	v_cmp_lt_i32_e64 s[0:1], 5, v11
	v_cmp_eq_u32_e64 s[2:3], 3, v11
	v_lshrrev_b32_e32 v8, 2, v8
	s_or_b64 s[0:1], s[2:3], s[0:1]
	v_addc_co_u32_e64 v8, s[0:1], 0, v8, s[0:1]
	v_cmp_gt_i32_e64 s[0:1], 31, v9
	v_lshrrev_b32_e32 v13, 16, v10
	v_cndmask_b32_e64 v11, v2, v8, s[0:1]
	v_mul_f16_sdwa v8, v84, v13 dst_sel:DWORD dst_unused:UNUSED_PAD src0_sel:WORD_1 src1_sel:DWORD
	v_fma_f16 v8, v84, v10, v8
	v_cvt_f32_f16_e32 v8, v8
	v_cmp_ne_u32_e64 s[0:1], 0, v7
	v_cndmask_b32_e64 v7, 0, 1, s[0:1]
	v_lshl_or_b32 v14, v7, 9, v2
	v_cvt_f64_f32_e32 v[7:8], v8
	v_cmp_eq_u32_e64 s[0:1], s11, v9
	v_cndmask_b32_e64 v9, v11, v14, s[0:1]
	v_lshrrev_b32_e32 v11, 16, v12
	v_mul_f64 v[7:8], v[7:8], s[12:13]
	v_and_or_b32 v9, v11, s14, v9
	v_and_b32_e32 v0, 0xffff, v0
	v_add_co_u32_e64 v5, s[0:1], s6, v5
	v_lshl_or_b32 v0, v9, 16, v0
	v_addc_co_u32_e64 v6, s[0:1], v6, v1, s[0:1]
	global_store_dword v[5:6], v0, off
	v_and_or_b32 v0, v8, s15, v7
	v_cmp_ne_u32_e64 s[0:1], 0, v0
	v_cndmask_b32_e64 v0, 0, 1, s[0:1]
	v_lshrrev_b32_e32 v7, 8, v8
	v_bfe_u32 v9, v8, 20, 11
	v_and_or_b32 v0, v7, s10, v0
	v_sub_u32_e32 v11, 0x3f1, v9
	v_or_b32_e32 v7, 0x1000, v0
	v_med3_i32 v11, v11, 0, 13
	v_lshrrev_b32_e32 v12, v11, v7
	v_lshlrev_b32_e32 v11, v11, v12
	v_mul_f16_sdwa v10, v84, v10 dst_sel:DWORD dst_unused:UNUSED_PAD src0_sel:WORD_1 src1_sel:DWORD
	v_cmp_ne_u32_e64 s[0:1], v11, v7
	v_fma_f16 v10, v84, v13, -v10
	v_cndmask_b32_e64 v7, 0, 1, s[0:1]
	v_add_u32_e32 v11, 0xfffffc10, v9
	v_cvt_f32_f16_e32 v10, v10
	v_or_b32_e32 v7, v12, v7
	v_lshl_or_b32 v9, v11, 12, v0
	v_cmp_gt_i32_e64 s[0:1], 1, v11
	v_cndmask_b32_e64 v7, v9, v7, s[0:1]
	v_and_b32_e32 v9, 7, v7
	v_cmp_lt_i32_e64 s[0:1], 5, v9
	v_cmp_eq_u32_e64 s[2:3], 3, v9
	v_cvt_f64_f32_e32 v[9:10], v10
	v_lshrrev_b32_e32 v7, 2, v7
	s_or_b64 s[0:1], s[2:3], s[0:1]
	v_addc_co_u32_e64 v7, s[0:1], 0, v7, s[0:1]
	v_mul_f64 v[9:10], v[9:10], s[12:13]
	v_cmp_gt_i32_e64 s[0:1], 31, v11
	v_cndmask_b32_e64 v7, v2, v7, s[0:1]
	v_cmp_ne_u32_e64 s[0:1], 0, v0
	v_cndmask_b32_e64 v0, 0, 1, s[0:1]
	v_lshl_or_b32 v0, v0, 9, v2
	v_cmp_eq_u32_e64 s[0:1], s11, v11
	v_cndmask_b32_e64 v0, v7, v0, s[0:1]
	v_lshrrev_b32_e32 v7, 16, v8
	v_and_or_b32 v0, v7, s14, v0
	v_and_or_b32 v7, v10, s15, v9
	v_cmp_ne_u32_e64 s[0:1], 0, v7
	v_cndmask_b32_e64 v7, 0, 1, s[0:1]
	v_lshrrev_b32_e32 v8, 8, v10
	v_and_or_b32 v9, v8, s10, v7
	v_bfe_u32 v8, v10, 20, 11
	v_sub_u32_e32 v11, 0x3f1, v8
	v_or_b32_e32 v7, 0x1000, v9
	v_med3_i32 v11, v11, 0, 13
	v_lshrrev_b32_e32 v12, v11, v7
	v_lshlrev_b32_e32 v11, v11, v12
	v_cmp_ne_u32_e64 s[0:1], v11, v7
	v_cndmask_b32_e64 v7, 0, 1, s[0:1]
	v_add_u32_e32 v13, 0xfffffc10, v8
	v_or_b32_e32 v7, v12, v7
	v_lshl_or_b32 v8, v13, 12, v9
	v_cmp_gt_i32_e64 s[0:1], 1, v13
	v_cndmask_b32_e64 v7, v8, v7, s[0:1]
	v_and_b32_e32 v8, 7, v7
	v_cmp_lt_i32_e64 s[0:1], 5, v8
	v_cmp_eq_u32_e64 s[2:3], 3, v8
	v_lshrrev_b32_e32 v11, 2, v7
	ds_read2_b32 v[7:8], v72 offset0:150 offset1:175
	s_or_b64 s[0:1], s[2:3], s[0:1]
	v_addc_co_u32_e64 v11, s[0:1], 0, v11, s[0:1]
	v_cmp_gt_i32_e64 s[0:1], 31, v13
	s_waitcnt lgkmcnt(0)
	v_lshrrev_b32_e32 v15, 16, v7
	v_cndmask_b32_e64 v14, v2, v11, s[0:1]
	s_waitcnt vmcnt(5)
	v_mul_f16_sdwa v11, v16, v15 dst_sel:DWORD dst_unused:UNUSED_PAD src0_sel:WORD_1 src1_sel:DWORD
	v_fma_f16 v11, v16, v7, v11
	v_mul_f16_sdwa v7, v16, v7 dst_sel:DWORD dst_unused:UNUSED_PAD src0_sel:WORD_1 src1_sel:DWORD
	v_fma_f16 v7, v16, v15, -v7
	buffer_load_dword v15, off, s[40:43], 0 offset:44 ; 4-byte Folded Reload
	buffer_load_dword v16, off, s[40:43], 0 offset:40 ; 4-byte Folded Reload
	v_cvt_f32_f16_e32 v11, v11
	v_cmp_ne_u32_e64 s[0:1], 0, v9
	v_cndmask_b32_e64 v9, 0, 1, s[0:1]
	v_lshl_or_b32 v9, v9, 9, v2
	v_cvt_f64_f32_e32 v[11:12], v11
	v_cmp_eq_u32_e64 s[0:1], s11, v13
	v_cndmask_b32_e64 v9, v14, v9, s[0:1]
	v_lshrrev_b32_e32 v10, 16, v10
	v_and_or_b32 v13, v10, s14, v9
	v_mul_f64 v[9:10], v[11:12], s[12:13]
	v_and_b32_e32 v0, 0xffff, v0
	v_add_co_u32_e64 v5, s[0:1], s6, v5
	v_lshl_or_b32 v0, v13, 16, v0
	v_addc_co_u32_e64 v6, s[0:1], v6, v1, s[0:1]
	global_store_dword v[5:6], v0, off
	v_and_or_b32 v0, v10, s15, v9
	v_cmp_ne_u32_e64 s[0:1], 0, v0
	v_cndmask_b32_e64 v0, 0, 1, s[0:1]
	v_lshrrev_b32_e32 v9, 8, v10
	v_bfe_u32 v11, v10, 20, 11
	v_and_or_b32 v0, v9, s10, v0
	v_sub_u32_e32 v12, 0x3f1, v11
	v_or_b32_e32 v9, 0x1000, v0
	v_med3_i32 v12, v12, 0, 13
	v_lshrrev_b32_e32 v13, v12, v9
	v_lshlrev_b32_e32 v12, v12, v13
	v_cmp_ne_u32_e64 s[0:1], v12, v9
	v_cndmask_b32_e64 v9, 0, 1, s[0:1]
	v_or_b32_e32 v9, v13, v9
	v_add_u32_e32 v13, 0xfffffc10, v11
	v_cvt_f32_f16_e32 v7, v7
	v_lshl_or_b32 v11, v13, 12, v0
	v_cmp_gt_i32_e64 s[0:1], 1, v13
	v_cndmask_b32_e64 v9, v11, v9, s[0:1]
	v_and_b32_e32 v11, 7, v9
	v_cmp_lt_i32_e64 s[0:1], 5, v11
	v_cmp_eq_u32_e64 s[2:3], 3, v11
	v_cvt_f64_f32_e32 v[11:12], v7
	v_lshrrev_b32_e32 v9, 2, v9
	s_or_b64 s[0:1], s[2:3], s[0:1]
	v_addc_co_u32_e64 v7, s[0:1], 0, v9, s[0:1]
	v_mul_f64 v[11:12], v[11:12], s[12:13]
	v_cmp_gt_i32_e64 s[0:1], 31, v13
	v_cndmask_b32_e64 v7, v2, v7, s[0:1]
	v_cmp_ne_u32_e64 s[0:1], 0, v0
	v_cndmask_b32_e64 v0, 0, 1, s[0:1]
	v_lshl_or_b32 v0, v0, 9, v2
	v_cmp_eq_u32_e64 s[0:1], s11, v13
	v_cndmask_b32_e64 v0, v7, v0, s[0:1]
	v_lshrrev_b32_e32 v7, 16, v10
	v_and_or_b32 v0, v7, s14, v0
	v_and_or_b32 v7, v12, s15, v11
	v_cmp_ne_u32_e64 s[0:1], 0, v7
	v_cndmask_b32_e64 v7, 0, 1, s[0:1]
	v_lshrrev_b32_e32 v9, 8, v12
	v_bfe_u32 v10, v12, 20, 11
	v_and_or_b32 v7, v9, s10, v7
	v_sub_u32_e32 v11, 0x3f1, v10
	v_or_b32_e32 v9, 0x1000, v7
	v_med3_i32 v11, v11, 0, 13
	v_lshrrev_b32_e32 v13, v11, v9
	v_lshlrev_b32_e32 v11, v11, v13
	v_cmp_ne_u32_e64 s[0:1], v11, v9
	v_cndmask_b32_e64 v9, 0, 1, s[0:1]
	v_add_u32_e32 v11, 0xfffffc10, v10
	v_or_b32_e32 v9, v13, v9
	v_lshl_or_b32 v10, v11, 12, v7
	v_cmp_gt_i32_e64 s[0:1], 1, v11
	v_cndmask_b32_e64 v9, v10, v9, s[0:1]
	v_and_b32_e32 v10, 7, v9
	v_cmp_lt_i32_e64 s[0:1], 5, v10
	v_cmp_eq_u32_e64 s[2:3], 3, v10
	v_lshrrev_b32_e32 v9, 2, v9
	s_or_b64 s[0:1], s[2:3], s[0:1]
	v_addc_co_u32_e64 v9, s[0:1], 0, v9, s[0:1]
	v_cmp_gt_i32_e64 s[0:1], 31, v11
	v_lshrrev_b32_e32 v14, 16, v8
	v_cndmask_b32_e64 v13, v2, v9, s[0:1]
	s_waitcnt vmcnt(2)
	v_mul_f16_sdwa v9, v15, v14 dst_sel:DWORD dst_unused:UNUSED_PAD src0_sel:WORD_1 src1_sel:DWORD
	v_fma_f16 v9, v15, v8, v9
	v_cvt_f32_f16_e32 v9, v9
	v_cmp_ne_u32_e64 s[0:1], 0, v7
	v_cndmask_b32_e64 v7, 0, 1, s[0:1]
	v_lshl_or_b32 v7, v7, 9, v2
	v_cvt_f64_f32_e32 v[9:10], v9
	v_cmp_eq_u32_e64 s[0:1], s11, v11
	v_cndmask_b32_e64 v7, v13, v7, s[0:1]
	v_lshrrev_b32_e32 v11, 16, v12
	v_mul_f64 v[9:10], v[9:10], s[12:13]
	v_and_or_b32 v7, v11, s14, v7
	v_and_b32_e32 v0, 0xffff, v0
	v_add_co_u32_e64 v5, s[0:1], s6, v5
	v_lshl_or_b32 v0, v7, 16, v0
	v_addc_co_u32_e64 v6, s[0:1], v6, v1, s[0:1]
	global_store_dword v[5:6], v0, off
	v_and_or_b32 v0, v10, s15, v9
	v_cmp_ne_u32_e64 s[0:1], 0, v0
	v_cndmask_b32_e64 v0, 0, 1, s[0:1]
	v_lshrrev_b32_e32 v7, 8, v10
	v_bfe_u32 v9, v10, 20, 11
	v_and_or_b32 v0, v7, s10, v0
	v_sub_u32_e32 v11, 0x3f1, v9
	v_or_b32_e32 v7, 0x1000, v0
	v_med3_i32 v11, v11, 0, 13
	v_lshrrev_b32_e32 v12, v11, v7
	v_lshlrev_b32_e32 v11, v11, v12
	v_mul_f16_sdwa v8, v15, v8 dst_sel:DWORD dst_unused:UNUSED_PAD src0_sel:WORD_1 src1_sel:DWORD
	v_cmp_ne_u32_e64 s[0:1], v11, v7
	v_fma_f16 v8, v15, v14, -v8
	v_cndmask_b32_e64 v7, 0, 1, s[0:1]
	v_add_u32_e32 v9, 0xfffffc10, v9
	v_cvt_f32_f16_e32 v8, v8
	v_or_b32_e32 v7, v12, v7
	v_lshl_or_b32 v11, v9, 12, v0
	v_cmp_gt_i32_e64 s[0:1], 1, v9
	v_cndmask_b32_e64 v7, v11, v7, s[0:1]
	v_and_b32_e32 v11, 7, v7
	v_cmp_lt_i32_e64 s[0:1], 5, v11
	v_cmp_eq_u32_e64 s[2:3], 3, v11
	v_lshrrev_b32_e32 v11, 2, v7
	v_cvt_f64_f32_e32 v[7:8], v8
	s_or_b64 s[0:1], s[2:3], s[0:1]
	v_addc_co_u32_e64 v11, s[0:1], 0, v11, s[0:1]
	v_mul_f64 v[7:8], v[7:8], s[12:13]
	v_cmp_gt_i32_e64 s[0:1], 31, v9
	v_cndmask_b32_e64 v11, v2, v11, s[0:1]
	v_cmp_ne_u32_e64 s[0:1], 0, v0
	v_cndmask_b32_e64 v0, 0, 1, s[0:1]
	v_lshl_or_b32 v0, v0, 9, v2
	v_cmp_eq_u32_e64 s[0:1], s11, v9
	v_cndmask_b32_e64 v0, v11, v0, s[0:1]
	v_and_or_b32 v7, v8, s15, v7
	v_lshrrev_b32_e32 v9, 16, v10
	v_cmp_ne_u32_e64 s[0:1], 0, v7
	v_and_or_b32 v0, v9, s14, v0
	v_cndmask_b32_e64 v7, 0, 1, s[0:1]
	v_lshrrev_b32_e32 v9, 8, v8
	v_bfe_u32 v10, v8, 20, 11
	v_and_or_b32 v7, v9, s10, v7
	v_sub_u32_e32 v11, 0x3f1, v10
	v_or_b32_e32 v9, 0x1000, v7
	v_med3_i32 v11, v11, 0, 13
	v_lshrrev_b32_e32 v12, v11, v9
	v_lshlrev_b32_e32 v11, v11, v12
	v_cmp_ne_u32_e64 s[0:1], v11, v9
	v_cndmask_b32_e64 v9, 0, 1, s[0:1]
	v_add_u32_e32 v13, 0xfffffc10, v10
	v_or_b32_e32 v9, v12, v9
	v_lshl_or_b32 v10, v13, 12, v7
	v_cmp_gt_i32_e64 s[0:1], 1, v13
	v_cndmask_b32_e64 v9, v10, v9, s[0:1]
	v_and_b32_e32 v10, 7, v9
	v_cmp_lt_i32_e64 s[0:1], 5, v10
	v_cmp_eq_u32_e64 s[2:3], 3, v10
	v_lshrrev_b32_e32 v11, 2, v9
	ds_read2_b32 v[9:10], v72 offset0:200 offset1:225
	s_or_b64 s[0:1], s[2:3], s[0:1]
	v_addc_co_u32_e64 v11, s[0:1], 0, v11, s[0:1]
	v_cmp_gt_i32_e64 s[0:1], 31, v13
	s_waitcnt lgkmcnt(0)
	v_lshrrev_b32_e32 v15, 16, v9
	v_cndmask_b32_e64 v14, v2, v11, s[0:1]
	s_waitcnt vmcnt(2)
	v_mul_f16_sdwa v11, v16, v15 dst_sel:DWORD dst_unused:UNUSED_PAD src0_sel:WORD_1 src1_sel:DWORD
	v_fma_f16 v11, v16, v9, v11
	v_mul_f16_sdwa v9, v16, v9 dst_sel:DWORD dst_unused:UNUSED_PAD src0_sel:WORD_1 src1_sel:DWORD
	v_fma_f16 v9, v16, v15, -v9
	buffer_load_dword v15, off, s[40:43], 0 offset:36 ; 4-byte Folded Reload
	buffer_load_dword v17, off, s[40:43], 0 offset:32 ; 4-byte Folded Reload
	v_cvt_f32_f16_e32 v11, v11
	v_cmp_ne_u32_e64 s[0:1], 0, v7
	v_cndmask_b32_e64 v7, 0, 1, s[0:1]
	v_lshl_or_b32 v7, v7, 9, v2
	v_cvt_f64_f32_e32 v[11:12], v11
	v_cmp_eq_u32_e64 s[0:1], s11, v13
	v_cndmask_b32_e64 v7, v14, v7, s[0:1]
	v_lshrrev_b32_e32 v8, 16, v8
	v_and_or_b32 v13, v8, s14, v7
	v_mul_f64 v[7:8], v[11:12], s[12:13]
	v_and_b32_e32 v0, 0xffff, v0
	v_add_co_u32_e64 v5, s[0:1], s6, v5
	v_lshl_or_b32 v0, v13, 16, v0
	v_addc_co_u32_e64 v6, s[0:1], v6, v1, s[0:1]
	global_store_dword v[5:6], v0, off
	v_and_or_b32 v0, v8, s15, v7
	v_cmp_ne_u32_e64 s[0:1], 0, v0
	v_cndmask_b32_e64 v0, 0, 1, s[0:1]
	v_lshrrev_b32_e32 v7, 8, v8
	v_bfe_u32 v11, v8, 20, 11
	v_and_or_b32 v0, v7, s10, v0
	v_sub_u32_e32 v12, 0x3f1, v11
	v_or_b32_e32 v7, 0x1000, v0
	v_med3_i32 v12, v12, 0, 13
	v_lshrrev_b32_e32 v13, v12, v7
	v_lshlrev_b32_e32 v12, v12, v13
	v_cmp_ne_u32_e64 s[0:1], v12, v7
	v_cndmask_b32_e64 v7, 0, 1, s[0:1]
	v_or_b32_e32 v7, v13, v7
	v_add_u32_e32 v13, 0xfffffc10, v11
	v_cvt_f32_f16_e32 v9, v9
	v_lshl_or_b32 v11, v13, 12, v0
	v_cmp_gt_i32_e64 s[0:1], 1, v13
	v_cndmask_b32_e64 v7, v11, v7, s[0:1]
	v_and_b32_e32 v11, 7, v7
	v_cmp_lt_i32_e64 s[0:1], 5, v11
	v_cmp_eq_u32_e64 s[2:3], 3, v11
	v_cvt_f64_f32_e32 v[11:12], v9
	v_lshrrev_b32_e32 v7, 2, v7
	s_or_b64 s[0:1], s[2:3], s[0:1]
	v_addc_co_u32_e64 v7, s[0:1], 0, v7, s[0:1]
	v_mul_f64 v[11:12], v[11:12], s[12:13]
	v_cmp_gt_i32_e64 s[0:1], 31, v13
	v_cndmask_b32_e64 v7, v2, v7, s[0:1]
	v_cmp_ne_u32_e64 s[0:1], 0, v0
	v_cndmask_b32_e64 v0, 0, 1, s[0:1]
	v_lshl_or_b32 v0, v0, 9, v2
	v_cmp_eq_u32_e64 s[0:1], s11, v13
	v_cndmask_b32_e64 v0, v7, v0, s[0:1]
	v_lshrrev_b32_e32 v7, 16, v8
	v_and_or_b32 v0, v7, s14, v0
	v_and_or_b32 v7, v12, s15, v11
	v_cmp_ne_u32_e64 s[0:1], 0, v7
	v_cndmask_b32_e64 v7, 0, 1, s[0:1]
	v_lshrrev_b32_e32 v8, 8, v12
	v_bfe_u32 v9, v12, 20, 11
	v_and_or_b32 v7, v8, s10, v7
	v_sub_u32_e32 v11, 0x3f1, v9
	v_or_b32_e32 v8, 0x1000, v7
	v_med3_i32 v11, v11, 0, 13
	v_lshrrev_b32_e32 v13, v11, v8
	v_lshlrev_b32_e32 v11, v11, v13
	v_cmp_ne_u32_e64 s[0:1], v11, v8
	v_cndmask_b32_e64 v8, 0, 1, s[0:1]
	v_add_u32_e32 v9, 0xfffffc10, v9
	v_or_b32_e32 v8, v13, v8
	v_lshl_or_b32 v11, v9, 12, v7
	v_cmp_gt_i32_e64 s[0:1], 1, v9
	v_cndmask_b32_e64 v8, v11, v8, s[0:1]
	v_and_b32_e32 v11, 7, v8
	v_cmp_lt_i32_e64 s[0:1], 5, v11
	v_cmp_eq_u32_e64 s[2:3], 3, v11
	v_lshrrev_b32_e32 v8, 2, v8
	s_or_b64 s[0:1], s[2:3], s[0:1]
	v_addc_co_u32_e64 v8, s[0:1], 0, v8, s[0:1]
	v_cmp_gt_i32_e64 s[0:1], 31, v9
	v_lshrrev_b32_e32 v13, 16, v10
	v_cndmask_b32_e64 v11, v2, v8, s[0:1]
	s_waitcnt vmcnt(2)
	v_mul_f16_sdwa v8, v15, v13 dst_sel:DWORD dst_unused:UNUSED_PAD src0_sel:WORD_1 src1_sel:DWORD
	v_fma_f16 v8, v15, v10, v8
	v_cvt_f32_f16_e32 v8, v8
	v_cmp_ne_u32_e64 s[0:1], 0, v7
	v_cndmask_b32_e64 v7, 0, 1, s[0:1]
	v_lshl_or_b32 v14, v7, 9, v2
	v_cvt_f64_f32_e32 v[7:8], v8
	v_cmp_eq_u32_e64 s[0:1], s11, v9
	v_cndmask_b32_e64 v9, v11, v14, s[0:1]
	v_lshrrev_b32_e32 v11, 16, v12
	v_mul_f64 v[7:8], v[7:8], s[12:13]
	v_and_or_b32 v9, v11, s14, v9
	v_and_b32_e32 v0, 0xffff, v0
	v_add_co_u32_e64 v11, s[0:1], s6, v5
	v_lshl_or_b32 v0, v9, 16, v0
	v_addc_co_u32_e64 v12, s[0:1], v6, v1, s[0:1]
	global_store_dword v[11:12], v0, off
	v_and_or_b32 v0, v8, s15, v7
	v_cmp_ne_u32_e64 s[0:1], 0, v0
	v_cndmask_b32_e64 v0, 0, 1, s[0:1]
	v_lshrrev_b32_e32 v5, 8, v8
	v_bfe_u32 v6, v8, 20, 11
	v_and_or_b32 v0, v5, s10, v0
	v_sub_u32_e32 v7, 0x3f1, v6
	v_or_b32_e32 v5, 0x1000, v0
	v_med3_i32 v7, v7, 0, 13
	v_lshrrev_b32_e32 v9, v7, v5
	v_lshlrev_b32_e32 v7, v7, v9
	v_cmp_ne_u32_e64 s[0:1], v7, v5
	v_cndmask_b32_e64 v5, 0, 1, s[0:1]
	v_or_b32_e32 v5, v9, v5
	v_mul_f16_sdwa v9, v15, v10 dst_sel:DWORD dst_unused:UNUSED_PAD src0_sel:WORD_1 src1_sel:DWORD
	v_fma_f16 v9, v15, v13, -v9
	v_add_u32_e32 v7, 0xfffffc10, v6
	v_cvt_f32_f16_e32 v9, v9
	v_lshl_or_b32 v6, v7, 12, v0
	v_cmp_gt_i32_e64 s[0:1], 1, v7
	v_cndmask_b32_e64 v5, v6, v5, s[0:1]
	v_and_b32_e32 v6, 7, v5
	v_cmp_lt_i32_e64 s[0:1], 5, v6
	v_cmp_eq_u32_e64 s[2:3], 3, v6
	v_lshrrev_b32_e32 v10, 2, v5
	v_cvt_f64_f32_e32 v[5:6], v9
	s_or_b64 s[0:1], s[2:3], s[0:1]
	v_addc_co_u32_e64 v9, s[0:1], 0, v10, s[0:1]
	v_mul_f64 v[5:6], v[5:6], s[12:13]
	v_cmp_gt_i32_e64 s[0:1], 31, v7
	v_cndmask_b32_e64 v9, v2, v9, s[0:1]
	v_cmp_ne_u32_e64 s[0:1], 0, v0
	v_cndmask_b32_e64 v0, 0, 1, s[0:1]
	v_lshl_or_b32 v0, v0, 9, v2
	v_cmp_eq_u32_e64 s[0:1], s11, v7
	v_cndmask_b32_e64 v0, v9, v0, s[0:1]
	v_and_or_b32 v5, v6, s15, v5
	v_lshrrev_b32_e32 v7, 16, v8
	v_cmp_ne_u32_e64 s[0:1], 0, v5
	v_and_or_b32 v0, v7, s14, v0
	v_cndmask_b32_e64 v5, 0, 1, s[0:1]
	v_lshrrev_b32_e32 v7, 8, v6
	v_and_or_b32 v9, v7, s10, v5
	v_bfe_u32 v7, v6, 20, 11
	v_sub_u32_e32 v8, 0x3f1, v7
	v_or_b32_e32 v5, 0x1000, v9
	v_med3_i32 v8, v8, 0, 13
	v_lshrrev_b32_e32 v10, v8, v5
	v_lshlrev_b32_e32 v8, v8, v10
	v_cmp_ne_u32_e64 s[0:1], v8, v5
	v_cndmask_b32_e64 v5, 0, 1, s[0:1]
	v_add_u32_e32 v13, 0xfffffc10, v7
	v_or_b32_e32 v5, v10, v5
	v_lshl_or_b32 v7, v13, 12, v9
	v_cmp_gt_i32_e64 s[0:1], 1, v13
	v_cndmask_b32_e64 v5, v7, v5, s[0:1]
	v_and_b32_e32 v7, 7, v5
	v_cmp_lt_i32_e64 s[0:1], 5, v7
	v_cmp_eq_u32_e64 s[2:3], 3, v7
	v_lshrrev_b32_e32 v10, 2, v5
	s_or_b64 s[0:1], s[2:3], s[0:1]
	v_addc_co_u32_e64 v10, s[0:1], 0, v10, s[0:1]
	v_cmp_gt_i32_e64 s[0:1], 31, v13
	v_cndmask_b32_e64 v14, v2, v10, s[0:1]
	v_cmp_ne_u32_e64 s[0:1], 0, v9
	v_cndmask_b32_e64 v9, 0, 1, s[0:1]
	v_lshl_or_b32 v16, v9, 9, v2
	v_cmp_eq_u32_e64 s[0:1], s11, v13
	v_cndmask_b32_e64 v13, v14, v16, s[0:1]
	buffer_load_dword v16, off, s[40:43], 0 offset:28 ; 4-byte Folded Reload
	v_add_u32_e32 v5, 0x200, v72
	ds_read2_b32 v[7:8], v5 offset0:122 offset1:147
	v_lshrrev_b32_e32 v6, 16, v6
	v_and_or_b32 v6, v6, s14, v13
	v_and_b32_e32 v0, 0xffff, v0
	v_add_co_u32_e64 v11, s[0:1], s6, v11
	s_waitcnt lgkmcnt(0)
	v_lshrrev_b32_e32 v15, 16, v7
	s_waitcnt vmcnt(3)
	v_mul_f16_sdwa v10, v17, v15 dst_sel:DWORD dst_unused:UNUSED_PAD src0_sel:WORD_1 src1_sel:DWORD
	v_fma_f16 v10, v17, v7, v10
	v_cvt_f32_f16_e32 v10, v10
	v_lshl_or_b32 v0, v6, 16, v0
	v_addc_co_u32_e64 v12, s[0:1], v12, v1, s[0:1]
	v_cvt_f64_f32_e32 v[9:10], v10
	global_store_dword v[11:12], v0, off
	v_mul_f16_sdwa v7, v17, v7 dst_sel:DWORD dst_unused:UNUSED_PAD src0_sel:WORD_1 src1_sel:DWORD
	v_fma_f16 v7, v17, v15, -v7
	buffer_load_dword v17, off, s[40:43], 0 offset:24 ; 4-byte Folded Reload
	v_mul_f64 v[9:10], v[9:10], s[12:13]
	v_cvt_f32_f16_e32 v7, v7
	v_lshrrev_b32_e32 v15, 16, v8
	v_and_or_b32 v0, v10, s15, v9
	v_cmp_ne_u32_e64 s[0:1], 0, v0
	v_cndmask_b32_e64 v0, 0, 1, s[0:1]
	v_lshrrev_b32_e32 v6, 8, v10
	v_bfe_u32 v9, v10, 20, 11
	v_and_or_b32 v0, v6, s10, v0
	v_sub_u32_e32 v13, 0x3f1, v9
	v_or_b32_e32 v6, 0x1000, v0
	v_med3_i32 v13, v13, 0, 13
	v_lshrrev_b32_e32 v14, v13, v6
	v_lshlrev_b32_e32 v13, v13, v14
	v_cmp_ne_u32_e64 s[0:1], v13, v6
	v_cndmask_b32_e64 v6, 0, 1, s[0:1]
	v_add_u32_e32 v9, 0xfffffc10, v9
	v_or_b32_e32 v6, v14, v6
	v_lshl_or_b32 v13, v9, 12, v0
	v_cmp_gt_i32_e64 s[0:1], 1, v9
	v_cndmask_b32_e64 v6, v13, v6, s[0:1]
	v_and_b32_e32 v13, 7, v6
	v_cmp_lt_i32_e64 s[0:1], 5, v13
	v_cmp_eq_u32_e64 s[2:3], 3, v13
	v_lshrrev_b32_e32 v13, 2, v6
	v_cvt_f64_f32_e32 v[6:7], v7
	s_or_b64 s[0:1], s[2:3], s[0:1]
	v_addc_co_u32_e64 v13, s[0:1], 0, v13, s[0:1]
	v_mul_f64 v[6:7], v[6:7], s[12:13]
	v_cmp_gt_i32_e64 s[0:1], 31, v9
	v_cndmask_b32_e64 v13, v2, v13, s[0:1]
	v_cmp_ne_u32_e64 s[0:1], 0, v0
	v_cndmask_b32_e64 v0, 0, 1, s[0:1]
	v_lshl_or_b32 v0, v0, 9, v2
	v_cmp_eq_u32_e64 s[0:1], s11, v9
	v_cndmask_b32_e64 v0, v13, v0, s[0:1]
	v_and_or_b32 v6, v7, s15, v6
	v_lshrrev_b32_e32 v9, 16, v10
	v_cmp_ne_u32_e64 s[0:1], 0, v6
	v_and_or_b32 v0, v9, s14, v0
	v_cndmask_b32_e64 v6, 0, 1, s[0:1]
	v_lshrrev_b32_e32 v9, 8, v7
	v_bfe_u32 v10, v7, 20, 11
	v_and_or_b32 v6, v9, s10, v6
	v_sub_u32_e32 v13, 0x3f1, v10
	v_or_b32_e32 v9, 0x1000, v6
	v_med3_i32 v13, v13, 0, 13
	v_lshrrev_b32_e32 v14, v13, v9
	v_lshlrev_b32_e32 v13, v13, v14
	v_cmp_ne_u32_e64 s[0:1], v13, v9
	v_cndmask_b32_e64 v9, 0, 1, s[0:1]
	v_add_u32_e32 v13, 0xfffffc10, v10
	v_or_b32_e32 v9, v14, v9
	v_lshl_or_b32 v10, v13, 12, v6
	v_cmp_gt_i32_e64 s[0:1], 1, v13
	v_cndmask_b32_e64 v9, v10, v9, s[0:1]
	v_and_b32_e32 v10, 7, v9
	v_cmp_lt_i32_e64 s[0:1], 5, v10
	v_cmp_eq_u32_e64 s[2:3], 3, v10
	v_lshrrev_b32_e32 v9, 2, v9
	s_or_b64 s[0:1], s[2:3], s[0:1]
	v_addc_co_u32_e64 v9, s[0:1], 0, v9, s[0:1]
	v_cmp_gt_i32_e64 s[0:1], 31, v13
	v_cndmask_b32_e64 v14, v2, v9, s[0:1]
	s_waitcnt vmcnt(2)
	v_mul_f16_sdwa v9, v16, v15 dst_sel:DWORD dst_unused:UNUSED_PAD src0_sel:WORD_1 src1_sel:DWORD
	v_fma_f16 v9, v16, v8, v9
	v_cvt_f32_f16_e32 v9, v9
	v_cmp_ne_u32_e64 s[0:1], 0, v6
	v_cndmask_b32_e64 v6, 0, 1, s[0:1]
	v_lshl_or_b32 v6, v6, 9, v2
	v_cvt_f64_f32_e32 v[9:10], v9
	v_cmp_eq_u32_e64 s[0:1], s11, v13
	v_cndmask_b32_e64 v6, v14, v6, s[0:1]
	v_lshrrev_b32_e32 v7, 16, v7
	v_and_or_b32 v13, v7, s14, v6
	v_mul_f64 v[6:7], v[9:10], s[12:13]
	v_and_b32_e32 v0, 0xffff, v0
	v_add_co_u32_e64 v9, s[0:1], s6, v11
	v_lshl_or_b32 v0, v13, 16, v0
	v_addc_co_u32_e64 v10, s[0:1], v12, v1, s[0:1]
	global_store_dword v[9:10], v0, off
	v_and_or_b32 v0, v7, s15, v6
	v_cmp_ne_u32_e64 s[0:1], 0, v0
	v_cndmask_b32_e64 v0, 0, 1, s[0:1]
	v_lshrrev_b32_e32 v6, 8, v7
	v_bfe_u32 v11, v7, 20, 11
	v_and_or_b32 v0, v6, s10, v0
	v_sub_u32_e32 v12, 0x3f1, v11
	v_or_b32_e32 v6, 0x1000, v0
	v_med3_i32 v12, v12, 0, 13
	v_lshrrev_b32_e32 v13, v12, v6
	v_lshlrev_b32_e32 v12, v12, v13
	v_cmp_ne_u32_e64 s[0:1], v12, v6
	v_mul_f16_sdwa v8, v16, v8 dst_sel:DWORD dst_unused:UNUSED_PAD src0_sel:WORD_1 src1_sel:DWORD
	v_cndmask_b32_e64 v6, 0, 1, s[0:1]
	v_fma_f16 v8, v16, v15, -v8
	v_or_b32_e32 v6, v13, v6
	v_add_u32_e32 v13, 0xfffffc10, v11
	v_cvt_f32_f16_e32 v8, v8
	v_lshl_or_b32 v11, v13, 12, v0
	v_cmp_gt_i32_e64 s[0:1], 1, v13
	v_cndmask_b32_e64 v6, v11, v6, s[0:1]
	v_and_b32_e32 v11, 7, v6
	v_cmp_lt_i32_e64 s[0:1], 5, v11
	v_cmp_eq_u32_e64 s[2:3], 3, v11
	v_cvt_f64_f32_e32 v[11:12], v8
	v_lshrrev_b32_e32 v6, 2, v6
	s_or_b64 s[0:1], s[2:3], s[0:1]
	v_addc_co_u32_e64 v6, s[0:1], 0, v6, s[0:1]
	v_mul_f64 v[11:12], v[11:12], s[12:13]
	v_cmp_gt_i32_e64 s[0:1], 31, v13
	v_cndmask_b32_e64 v6, v2, v6, s[0:1]
	v_cmp_ne_u32_e64 s[0:1], 0, v0
	v_cndmask_b32_e64 v0, 0, 1, s[0:1]
	v_lshl_or_b32 v0, v0, 9, v2
	v_cmp_eq_u32_e64 s[0:1], s11, v13
	v_cndmask_b32_e64 v0, v6, v0, s[0:1]
	v_lshrrev_b32_e32 v6, 16, v7
	v_and_or_b32 v0, v6, s14, v0
	v_and_or_b32 v6, v12, s15, v11
	v_cmp_ne_u32_e64 s[0:1], 0, v6
	v_cndmask_b32_e64 v6, 0, 1, s[0:1]
	v_lshrrev_b32_e32 v7, 8, v12
	v_and_or_b32 v8, v7, s10, v6
	v_bfe_u32 v7, v12, 20, 11
	v_sub_u32_e32 v11, 0x3f1, v7
	v_or_b32_e32 v6, 0x1000, v8
	v_med3_i32 v11, v11, 0, 13
	v_lshrrev_b32_e32 v13, v11, v6
	v_lshlrev_b32_e32 v11, v11, v13
	v_cmp_ne_u32_e64 s[0:1], v11, v6
	v_cndmask_b32_e64 v6, 0, 1, s[0:1]
	v_add_u32_e32 v11, 0xfffffc10, v7
	v_or_b32_e32 v6, v13, v6
	v_lshl_or_b32 v7, v11, 12, v8
	v_cmp_gt_i32_e64 s[0:1], 1, v11
	v_cndmask_b32_e64 v6, v7, v6, s[0:1]
	v_and_b32_e32 v7, 7, v6
	v_cmp_lt_i32_e64 s[0:1], 5, v7
	v_cmp_eq_u32_e64 s[2:3], 3, v7
	v_lshrrev_b32_e32 v13, 2, v6
	ds_read2_b32 v[6:7], v39 offset0:44 offset1:69
	s_or_b64 s[0:1], s[2:3], s[0:1]
	v_addc_co_u32_e64 v13, s[0:1], 0, v13, s[0:1]
	v_cmp_gt_i32_e64 s[0:1], 31, v11
	s_waitcnt lgkmcnt(0)
	v_lshrrev_b32_e32 v16, 16, v6
	v_cndmask_b32_e64 v15, v2, v13, s[0:1]
	s_waitcnt vmcnt(1)
	v_mul_f16_sdwa v13, v17, v16 dst_sel:DWORD dst_unused:UNUSED_PAD src0_sel:WORD_1 src1_sel:DWORD
	v_fma_f16 v13, v17, v6, v13
	v_mul_f16_sdwa v6, v17, v6 dst_sel:DWORD dst_unused:UNUSED_PAD src0_sel:WORD_1 src1_sel:DWORD
	v_fma_f16 v6, v17, v16, -v6
	buffer_load_dword v16, off, s[40:43], 0 offset:20 ; 4-byte Folded Reload
	buffer_load_dword v17, off, s[40:43], 0 offset:16 ; 4-byte Folded Reload
	v_cvt_f32_f16_e32 v13, v13
	v_cmp_ne_u32_e64 s[0:1], 0, v8
	v_cndmask_b32_e64 v8, 0, 1, s[0:1]
	v_lshl_or_b32 v8, v8, 9, v2
	v_cvt_f64_f32_e32 v[13:14], v13
	v_cmp_eq_u32_e64 s[0:1], s11, v11
	v_cndmask_b32_e64 v8, v15, v8, s[0:1]
	v_lshrrev_b32_e32 v11, 16, v12
	v_and_or_b32 v8, v11, s14, v8
	v_mul_f64 v[11:12], v[13:14], s[12:13]
	v_and_b32_e32 v0, 0xffff, v0
	v_lshl_or_b32 v0, v8, 16, v0
	v_add_co_u32_e64 v8, s[0:1], s6, v9
	v_addc_co_u32_e64 v9, s[0:1], v10, v1, s[0:1]
	global_store_dword v[8:9], v0, off
	v_and_or_b32 v0, v12, s15, v11
	v_cmp_ne_u32_e64 s[0:1], 0, v0
	v_cndmask_b32_e64 v0, 0, 1, s[0:1]
	v_lshrrev_b32_e32 v10, 8, v12
	v_bfe_u32 v11, v12, 20, 11
	v_and_or_b32 v0, v10, s10, v0
	v_sub_u32_e32 v13, 0x3f1, v11
	v_or_b32_e32 v10, 0x1000, v0
	v_med3_i32 v13, v13, 0, 13
	v_lshrrev_b32_e32 v14, v13, v10
	v_lshlrev_b32_e32 v13, v13, v14
	v_cmp_ne_u32_e64 s[0:1], v13, v10
	v_cndmask_b32_e64 v10, 0, 1, s[0:1]
	v_add_u32_e32 v13, 0xfffffc10, v11
	v_cvt_f32_f16_e32 v6, v6
	v_or_b32_e32 v10, v14, v10
	v_lshl_or_b32 v11, v13, 12, v0
	v_cmp_gt_i32_e64 s[0:1], 1, v13
	v_cndmask_b32_e64 v10, v11, v10, s[0:1]
	v_and_b32_e32 v11, 7, v10
	v_cmp_lt_i32_e64 s[0:1], 5, v11
	v_cmp_eq_u32_e64 s[2:3], 3, v11
	v_lshrrev_b32_e32 v14, 2, v10
	v_cvt_f64_f32_e32 v[10:11], v6
	s_or_b64 s[0:1], s[2:3], s[0:1]
	v_addc_co_u32_e64 v6, s[0:1], 0, v14, s[0:1]
	v_mul_f64 v[10:11], v[10:11], s[12:13]
	v_cmp_gt_i32_e64 s[0:1], 31, v13
	v_cndmask_b32_e64 v6, v2, v6, s[0:1]
	v_cmp_ne_u32_e64 s[0:1], 0, v0
	v_cndmask_b32_e64 v0, 0, 1, s[0:1]
	v_lshl_or_b32 v0, v0, 9, v2
	v_cmp_eq_u32_e64 s[0:1], s11, v13
	v_cndmask_b32_e64 v0, v6, v0, s[0:1]
	v_lshrrev_b32_e32 v6, 16, v12
	v_and_or_b32 v0, v6, s14, v0
	v_and_or_b32 v6, v11, s15, v10
	v_cmp_ne_u32_e64 s[0:1], 0, v6
	v_cndmask_b32_e64 v6, 0, 1, s[0:1]
	v_lshrrev_b32_e32 v10, 8, v11
	v_bfe_u32 v12, v11, 20, 11
	v_and_or_b32 v6, v10, s10, v6
	v_sub_u32_e32 v13, 0x3f1, v12
	v_or_b32_e32 v10, 0x1000, v6
	v_med3_i32 v13, v13, 0, 13
	v_lshrrev_b32_e32 v14, v13, v10
	v_lshlrev_b32_e32 v13, v13, v14
	v_cmp_ne_u32_e64 s[0:1], v13, v10
	v_cndmask_b32_e64 v10, 0, 1, s[0:1]
	v_or_b32_e32 v10, v14, v10
	v_add_u32_e32 v14, 0xfffffc10, v12
	v_lshl_or_b32 v12, v14, 12, v6
	v_cmp_gt_i32_e64 s[0:1], 1, v14
	v_cndmask_b32_e64 v10, v12, v10, s[0:1]
	v_and_b32_e32 v12, 7, v10
	v_lshrrev_b32_e32 v15, 16, v7
	v_cmp_lt_i32_e64 s[0:1], 5, v12
	v_cmp_eq_u32_e64 s[2:3], 3, v12
	v_lshrrev_b32_e32 v10, 2, v10
	s_or_b64 s[0:1], s[2:3], s[0:1]
	s_waitcnt vmcnt(2)
	v_mul_f16_sdwa v12, v16, v15 dst_sel:DWORD dst_unused:UNUSED_PAD src0_sel:WORD_1 src1_sel:DWORD
	v_fma_f16 v12, v16, v7, v12
	v_cvt_f32_f16_e32 v12, v12
	v_addc_co_u32_e64 v10, s[0:1], 0, v10, s[0:1]
	v_cmp_gt_i32_e64 s[0:1], 31, v14
	v_cndmask_b32_e64 v10, v2, v10, s[0:1]
	v_cmp_ne_u32_e64 s[0:1], 0, v6
	v_cvt_f64_f32_e32 v[12:13], v12
	v_cndmask_b32_e64 v6, 0, 1, s[0:1]
	v_lshl_or_b32 v6, v6, 9, v2
	v_cmp_eq_u32_e64 s[0:1], s11, v14
	v_cndmask_b32_e64 v6, v10, v6, s[0:1]
	v_lshrrev_b32_e32 v10, 16, v11
	v_and_or_b32 v6, v10, s14, v6
	v_mul_f64 v[10:11], v[12:13], s[12:13]
	v_and_b32_e32 v0, 0xffff, v0
	v_add_co_u32_e64 v8, s[0:1], s6, v8
	v_lshl_or_b32 v0, v6, 16, v0
	v_addc_co_u32_e64 v9, s[0:1], v9, v1, s[0:1]
	global_store_dword v[8:9], v0, off
	v_and_or_b32 v0, v11, s15, v10
	v_cmp_ne_u32_e64 s[0:1], 0, v0
	v_cndmask_b32_e64 v0, 0, 1, s[0:1]
	v_lshrrev_b32_e32 v6, 8, v11
	v_bfe_u32 v10, v11, 20, 11
	v_and_or_b32 v0, v6, s10, v0
	v_sub_u32_e32 v12, 0x3f1, v10
	v_or_b32_e32 v6, 0x1000, v0
	v_med3_i32 v12, v12, 0, 13
	v_lshrrev_b32_e32 v13, v12, v6
	v_lshlrev_b32_e32 v12, v12, v13
	v_mul_f16_sdwa v7, v16, v7 dst_sel:DWORD dst_unused:UNUSED_PAD src0_sel:WORD_1 src1_sel:DWORD
	v_cmp_ne_u32_e64 s[0:1], v12, v6
	v_fma_f16 v7, v16, v15, -v7
	v_cndmask_b32_e64 v6, 0, 1, s[0:1]
	v_add_u32_e32 v10, 0xfffffc10, v10
	v_cvt_f32_f16_e32 v7, v7
	v_or_b32_e32 v6, v13, v6
	v_lshl_or_b32 v12, v10, 12, v0
	v_cmp_gt_i32_e64 s[0:1], 1, v10
	v_cndmask_b32_e64 v6, v12, v6, s[0:1]
	v_and_b32_e32 v12, 7, v6
	v_cmp_lt_i32_e64 s[0:1], 5, v12
	v_cmp_eq_u32_e64 s[2:3], 3, v12
	v_lshrrev_b32_e32 v12, 2, v6
	v_cvt_f64_f32_e32 v[6:7], v7
	s_or_b64 s[0:1], s[2:3], s[0:1]
	v_addc_co_u32_e64 v12, s[0:1], 0, v12, s[0:1]
	v_mul_f64 v[6:7], v[6:7], s[12:13]
	v_cmp_gt_i32_e64 s[0:1], 31, v10
	v_cndmask_b32_e64 v12, v2, v12, s[0:1]
	v_cmp_ne_u32_e64 s[0:1], 0, v0
	v_cndmask_b32_e64 v0, 0, 1, s[0:1]
	v_lshl_or_b32 v0, v0, 9, v2
	v_cmp_eq_u32_e64 s[0:1], s11, v10
	v_cndmask_b32_e64 v0, v12, v0, s[0:1]
	v_and_or_b32 v6, v7, s15, v6
	v_lshrrev_b32_e32 v10, 16, v11
	v_cmp_ne_u32_e64 s[0:1], 0, v6
	v_and_or_b32 v0, v10, s14, v0
	v_cndmask_b32_e64 v6, 0, 1, s[0:1]
	v_lshrrev_b32_e32 v10, 8, v7
	v_bfe_u32 v11, v7, 20, 11
	v_and_or_b32 v6, v10, s10, v6
	v_sub_u32_e32 v12, 0x3f1, v11
	v_or_b32_e32 v10, 0x1000, v6
	v_med3_i32 v12, v12, 0, 13
	v_lshrrev_b32_e32 v13, v12, v10
	v_lshlrev_b32_e32 v12, v12, v13
	v_cmp_ne_u32_e64 s[0:1], v12, v10
	v_cndmask_b32_e64 v10, 0, 1, s[0:1]
	v_add_u32_e32 v14, 0xfffffc10, v11
	v_or_b32_e32 v10, v13, v10
	v_lshl_or_b32 v11, v14, 12, v6
	v_cmp_gt_i32_e64 s[0:1], 1, v14
	v_cndmask_b32_e64 v10, v11, v10, s[0:1]
	v_and_b32_e32 v11, 7, v10
	v_cmp_lt_i32_e64 s[0:1], 5, v11
	v_cmp_eq_u32_e64 s[2:3], 3, v11
	v_lshrrev_b32_e32 v12, 2, v10
	ds_read2_b32 v[10:11], v39 offset0:94 offset1:119
	s_or_b64 s[0:1], s[2:3], s[0:1]
	v_addc_co_u32_e64 v12, s[0:1], 0, v12, s[0:1]
	v_cmp_gt_i32_e64 s[0:1], 31, v14
	s_waitcnt lgkmcnt(0)
	v_lshrrev_b32_e32 v16, 16, v10
	v_cndmask_b32_e64 v15, v2, v12, s[0:1]
	s_waitcnt vmcnt(2)
	v_mul_f16_sdwa v12, v17, v16 dst_sel:DWORD dst_unused:UNUSED_PAD src0_sel:WORD_1 src1_sel:DWORD
	v_fma_f16 v12, v17, v10, v12
	v_mul_f16_sdwa v10, v17, v10 dst_sel:DWORD dst_unused:UNUSED_PAD src0_sel:WORD_1 src1_sel:DWORD
	v_fma_f16 v10, v17, v16, -v10
	buffer_load_dword v16, off, s[40:43], 0 offset:12 ; 4-byte Folded Reload
	v_cvt_f32_f16_e32 v12, v12
	v_cmp_ne_u32_e64 s[0:1], 0, v6
	v_cndmask_b32_e64 v6, 0, 1, s[0:1]
	v_lshl_or_b32 v6, v6, 9, v2
	v_cvt_f64_f32_e32 v[12:13], v12
	v_cmp_eq_u32_e64 s[0:1], s11, v14
	v_cndmask_b32_e64 v6, v15, v6, s[0:1]
	v_lshrrev_b32_e32 v7, 16, v7
	v_and_or_b32 v14, v7, s14, v6
	v_mul_f64 v[6:7], v[12:13], s[12:13]
	v_and_b32_e32 v0, 0xffff, v0
	v_add_co_u32_e64 v8, s[0:1], s6, v8
	v_lshl_or_b32 v0, v14, 16, v0
	v_addc_co_u32_e64 v9, s[0:1], v9, v1, s[0:1]
	global_store_dword v[8:9], v0, off
	v_and_or_b32 v0, v7, s15, v6
	v_cmp_ne_u32_e64 s[0:1], 0, v0
	v_cndmask_b32_e64 v0, 0, 1, s[0:1]
	v_lshrrev_b32_e32 v6, 8, v7
	v_bfe_u32 v12, v7, 20, 11
	v_and_or_b32 v0, v6, s10, v0
	v_sub_u32_e32 v13, 0x3f1, v12
	v_or_b32_e32 v6, 0x1000, v0
	v_med3_i32 v13, v13, 0, 13
	v_lshrrev_b32_e32 v14, v13, v6
	v_lshlrev_b32_e32 v13, v13, v14
	v_cmp_ne_u32_e64 s[0:1], v13, v6
	v_cndmask_b32_e64 v6, 0, 1, s[0:1]
	v_or_b32_e32 v6, v14, v6
	v_add_u32_e32 v14, 0xfffffc10, v12
	v_cvt_f32_f16_e32 v10, v10
	v_lshl_or_b32 v12, v14, 12, v0
	v_cmp_gt_i32_e64 s[0:1], 1, v14
	v_cndmask_b32_e64 v6, v12, v6, s[0:1]
	v_and_b32_e32 v12, 7, v6
	v_cmp_lt_i32_e64 s[0:1], 5, v12
	v_cmp_eq_u32_e64 s[2:3], 3, v12
	v_cvt_f64_f32_e32 v[12:13], v10
	v_lshrrev_b32_e32 v6, 2, v6
	s_or_b64 s[0:1], s[2:3], s[0:1]
	v_addc_co_u32_e64 v6, s[0:1], 0, v6, s[0:1]
	v_mul_f64 v[12:13], v[12:13], s[12:13]
	v_cmp_gt_i32_e64 s[0:1], 31, v14
	v_cndmask_b32_e64 v6, v2, v6, s[0:1]
	v_cmp_ne_u32_e64 s[0:1], 0, v0
	v_cndmask_b32_e64 v0, 0, 1, s[0:1]
	v_lshl_or_b32 v0, v0, 9, v2
	v_cmp_eq_u32_e64 s[0:1], s11, v14
	v_cndmask_b32_e64 v0, v6, v0, s[0:1]
	v_lshrrev_b32_e32 v6, 16, v7
	v_and_or_b32 v0, v6, s14, v0
	v_and_or_b32 v6, v13, s15, v12
	v_cmp_ne_u32_e64 s[0:1], 0, v6
	v_cndmask_b32_e64 v6, 0, 1, s[0:1]
	v_lshrrev_b32_e32 v7, 8, v13
	v_bfe_u32 v10, v13, 20, 11
	v_and_or_b32 v6, v7, s10, v6
	v_sub_u32_e32 v12, 0x3f1, v10
	v_or_b32_e32 v7, 0x1000, v6
	v_med3_i32 v12, v12, 0, 13
	v_lshrrev_b32_e32 v14, v12, v7
	v_lshlrev_b32_e32 v12, v12, v14
	v_cmp_ne_u32_e64 s[0:1], v12, v7
	v_cndmask_b32_e64 v7, 0, 1, s[0:1]
	v_add_u32_e32 v10, 0xfffffc10, v10
	v_or_b32_e32 v7, v14, v7
	v_lshl_or_b32 v12, v10, 12, v6
	v_cmp_gt_i32_e64 s[0:1], 1, v10
	v_cndmask_b32_e64 v7, v12, v7, s[0:1]
	v_and_b32_e32 v12, 7, v7
	v_cmp_lt_i32_e64 s[0:1], 5, v12
	v_cmp_eq_u32_e64 s[2:3], 3, v12
	v_lshrrev_b32_e32 v7, 2, v7
	s_or_b64 s[0:1], s[2:3], s[0:1]
	v_addc_co_u32_e64 v7, s[0:1], 0, v7, s[0:1]
	v_cmp_gt_i32_e64 s[0:1], 31, v10
	v_lshrrev_b32_e32 v14, 16, v11
	v_cndmask_b32_e64 v12, v2, v7, s[0:1]
	s_waitcnt vmcnt(1)
	v_mul_f16_sdwa v7, v16, v14 dst_sel:DWORD dst_unused:UNUSED_PAD src0_sel:WORD_1 src1_sel:DWORD
	v_fma_f16 v7, v16, v11, v7
	v_mul_f16_sdwa v11, v16, v11 dst_sel:DWORD dst_unused:UNUSED_PAD src0_sel:WORD_1 src1_sel:DWORD
	v_fma_f16 v11, v16, v14, -v11
	buffer_load_dword v16, off, s[40:43], 0 offset:8 ; 4-byte Folded Reload
	v_cvt_f32_f16_e32 v7, v7
	v_cmp_ne_u32_e64 s[0:1], 0, v6
	v_cndmask_b32_e64 v6, 0, 1, s[0:1]
	v_lshl_or_b32 v15, v6, 9, v2
	v_cvt_f64_f32_e32 v[6:7], v7
	v_cmp_eq_u32_e64 s[0:1], s11, v10
	v_cndmask_b32_e64 v10, v12, v15, s[0:1]
	v_lshrrev_b32_e32 v12, 16, v13
	v_mul_f64 v[6:7], v[6:7], s[12:13]
	v_and_or_b32 v10, v12, s14, v10
	v_and_b32_e32 v0, 0xffff, v0
	v_add_co_u32_e64 v8, s[0:1], s6, v8
	v_lshl_or_b32 v0, v10, 16, v0
	v_addc_co_u32_e64 v9, s[0:1], v9, v1, s[0:1]
	global_store_dword v[8:9], v0, off
	v_and_or_b32 v0, v7, s15, v6
	v_cmp_ne_u32_e64 s[0:1], 0, v0
	v_cndmask_b32_e64 v0, 0, 1, s[0:1]
	v_lshrrev_b32_e32 v6, 8, v7
	v_bfe_u32 v10, v7, 20, 11
	v_and_or_b32 v0, v6, s10, v0
	v_sub_u32_e32 v12, 0x3f1, v10
	v_or_b32_e32 v6, 0x1000, v0
	v_med3_i32 v12, v12, 0, 13
	v_lshrrev_b32_e32 v13, v12, v6
	v_lshlrev_b32_e32 v12, v12, v13
	v_cmp_ne_u32_e64 s[0:1], v12, v6
	v_cndmask_b32_e64 v6, 0, 1, s[0:1]
	v_add_u32_e32 v12, 0xfffffc10, v10
	v_cvt_f32_f16_e32 v11, v11
	v_or_b32_e32 v6, v13, v6
	v_lshl_or_b32 v10, v12, 12, v0
	v_cmp_gt_i32_e64 s[0:1], 1, v12
	v_cndmask_b32_e64 v6, v10, v6, s[0:1]
	v_and_b32_e32 v10, 7, v6
	v_cmp_lt_i32_e64 s[0:1], 5, v10
	v_cmp_eq_u32_e64 s[2:3], 3, v10
	v_cvt_f64_f32_e32 v[10:11], v11
	v_lshrrev_b32_e32 v6, 2, v6
	s_or_b64 s[0:1], s[2:3], s[0:1]
	v_addc_co_u32_e64 v6, s[0:1], 0, v6, s[0:1]
	v_mul_f64 v[10:11], v[10:11], s[12:13]
	v_cmp_gt_i32_e64 s[0:1], 31, v12
	v_cndmask_b32_e64 v6, v2, v6, s[0:1]
	v_cmp_ne_u32_e64 s[0:1], 0, v0
	v_cndmask_b32_e64 v0, 0, 1, s[0:1]
	v_lshl_or_b32 v0, v0, 9, v2
	v_cmp_eq_u32_e64 s[0:1], s11, v12
	v_cndmask_b32_e64 v0, v6, v0, s[0:1]
	v_lshrrev_b32_e32 v6, 16, v7
	v_and_or_b32 v0, v6, s14, v0
	v_and_or_b32 v6, v11, s15, v10
	v_cmp_ne_u32_e64 s[0:1], 0, v6
	v_cndmask_b32_e64 v6, 0, 1, s[0:1]
	v_lshrrev_b32_e32 v7, 8, v11
	v_bfe_u32 v10, v11, 20, 11
	v_and_or_b32 v6, v7, s10, v6
	v_sub_u32_e32 v12, 0x3f1, v10
	v_or_b32_e32 v7, 0x1000, v6
	v_med3_i32 v12, v12, 0, 13
	v_lshrrev_b32_e32 v13, v12, v7
	v_lshlrev_b32_e32 v12, v12, v13
	v_cmp_ne_u32_e64 s[0:1], v12, v7
	v_cndmask_b32_e64 v7, 0, 1, s[0:1]
	v_add_u32_e32 v10, 0xfffffc10, v10
	v_or_b32_e32 v7, v13, v7
	v_lshl_or_b32 v12, v10, 12, v6
	v_cmp_gt_i32_e64 s[0:1], 1, v10
	v_cndmask_b32_e64 v7, v12, v7, s[0:1]
	v_and_b32_e32 v12, 7, v7
	v_cmp_lt_i32_e64 s[0:1], 5, v12
	v_cmp_eq_u32_e64 s[2:3], 3, v12
	ds_read_b32 v12, v72 offset:1600
	v_lshrrev_b32_e32 v7, 2, v7
	s_or_b64 s[0:1], s[2:3], s[0:1]
	v_addc_co_u32_e64 v7, s[0:1], 0, v7, s[0:1]
	v_cmp_gt_i32_e64 s[0:1], 31, v10
	s_waitcnt lgkmcnt(0)
	v_lshrrev_b32_e32 v14, 16, v12
	v_cndmask_b32_e64 v13, v2, v7, s[0:1]
	s_waitcnt vmcnt(1)
	v_mul_f16_sdwa v7, v16, v14 dst_sel:DWORD dst_unused:UNUSED_PAD src0_sel:WORD_1 src1_sel:DWORD
	v_fma_f16 v7, v16, v12, v7
	v_cvt_f32_f16_e32 v7, v7
	v_cmp_ne_u32_e64 s[0:1], 0, v6
	v_cndmask_b32_e64 v6, 0, 1, s[0:1]
	v_lshl_or_b32 v15, v6, 9, v2
	v_cvt_f64_f32_e32 v[6:7], v7
	v_cmp_eq_u32_e64 s[0:1], s11, v10
	v_cndmask_b32_e64 v10, v13, v15, s[0:1]
	v_lshrrev_b32_e32 v11, 16, v11
	v_mul_f64 v[6:7], v[6:7], s[12:13]
	v_and_or_b32 v10, v11, s14, v10
	v_and_b32_e32 v0, 0xffff, v0
	v_add_co_u32_e64 v8, s[0:1], s6, v8
	v_lshl_or_b32 v0, v10, 16, v0
	v_addc_co_u32_e64 v9, s[0:1], v9, v1, s[0:1]
	global_store_dword v[8:9], v0, off
	v_and_or_b32 v0, v7, s15, v6
	v_cmp_ne_u32_e64 s[0:1], 0, v0
	v_cndmask_b32_e64 v0, 0, 1, s[0:1]
	v_lshrrev_b32_e32 v6, 8, v7
	v_bfe_u32 v10, v7, 20, 11
	v_and_or_b32 v0, v6, s10, v0
	v_sub_u32_e32 v11, 0x3f1, v10
	v_or_b32_e32 v6, 0x1000, v0
	v_med3_i32 v11, v11, 0, 13
	v_lshrrev_b32_e32 v13, v11, v6
	v_lshlrev_b32_e32 v11, v11, v13
	v_cmp_ne_u32_e64 s[0:1], v11, v6
	v_mul_f16_sdwa v11, v16, v12 dst_sel:DWORD dst_unused:UNUSED_PAD src0_sel:WORD_1 src1_sel:DWORD
	v_cndmask_b32_e64 v6, 0, 1, s[0:1]
	v_fma_f16 v11, v16, v14, -v11
	v_or_b32_e32 v6, v13, v6
	v_add_u32_e32 v13, 0xfffffc10, v10
	v_cvt_f32_f16_e32 v11, v11
	v_lshl_or_b32 v10, v13, 12, v0
	v_cmp_gt_i32_e64 s[0:1], 1, v13
	v_cndmask_b32_e64 v6, v10, v6, s[0:1]
	v_and_b32_e32 v10, 7, v6
	v_cmp_lt_i32_e64 s[0:1], 5, v10
	v_cmp_eq_u32_e64 s[2:3], 3, v10
	v_cvt_f64_f32_e32 v[10:11], v11
	v_lshrrev_b32_e32 v6, 2, v6
	s_or_b64 s[0:1], s[2:3], s[0:1]
	v_addc_co_u32_e64 v6, s[0:1], 0, v6, s[0:1]
	v_mul_f64 v[10:11], v[10:11], s[12:13]
	v_cmp_gt_i32_e64 s[0:1], 31, v13
	v_cndmask_b32_e64 v6, v2, v6, s[0:1]
	v_cmp_ne_u32_e64 s[0:1], 0, v0
	v_cndmask_b32_e64 v0, 0, 1, s[0:1]
	v_lshl_or_b32 v0, v0, 9, v2
	v_cmp_eq_u32_e64 s[0:1], s11, v13
	v_cndmask_b32_e64 v0, v6, v0, s[0:1]
	v_lshrrev_b32_e32 v6, 16, v7
	v_and_or_b32 v0, v6, s14, v0
	v_and_or_b32 v6, v11, s15, v10
	v_cmp_ne_u32_e64 s[0:1], 0, v6
	v_cndmask_b32_e64 v6, 0, 1, s[0:1]
	v_lshrrev_b32_e32 v7, 8, v11
	v_bfe_u32 v10, v11, 20, 11
	v_and_or_b32 v6, v7, s10, v6
	v_sub_u32_e32 v12, 0x3f1, v10
	v_or_b32_e32 v7, 0x1000, v6
	v_med3_i32 v12, v12, 0, 13
	v_lshrrev_b32_e32 v13, v12, v7
	v_lshlrev_b32_e32 v12, v12, v13
	v_cmp_ne_u32_e64 s[0:1], v12, v7
	v_cndmask_b32_e64 v7, 0, 1, s[0:1]
	v_add_u32_e32 v10, 0xfffffc10, v10
	v_or_b32_e32 v7, v13, v7
	v_lshl_or_b32 v12, v10, 12, v6
	v_cmp_gt_i32_e64 s[0:1], 1, v10
	v_cndmask_b32_e64 v7, v12, v7, s[0:1]
	v_and_b32_e32 v12, 7, v7
	v_cmp_lt_i32_e64 s[0:1], 5, v12
	v_cmp_eq_u32_e64 s[2:3], 3, v12
	v_lshrrev_b32_e32 v7, 2, v7
	s_or_b64 s[0:1], s[2:3], s[0:1]
	v_addc_co_u32_e64 v7, s[0:1], 0, v7, s[0:1]
	v_cmp_gt_i32_e64 s[0:1], 31, v10
	v_cndmask_b32_e64 v7, v2, v7, s[0:1]
	v_cmp_ne_u32_e64 s[0:1], 0, v6
	v_cndmask_b32_e64 v6, 0, 1, s[0:1]
	v_lshl_or_b32 v6, v6, 9, v2
	v_cmp_eq_u32_e64 s[0:1], s11, v10
	v_cndmask_b32_e64 v6, v7, v6, s[0:1]
	v_lshrrev_b32_e32 v7, 16, v11
	v_and_or_b32 v6, v7, s14, v6
	v_and_b32_e32 v0, 0xffff, v0
	v_lshl_or_b32 v6, v6, 16, v0
	v_add_co_u32_e64 v0, s[0:1], s6, v8
	v_addc_co_u32_e64 v1, s[0:1], v9, v1, s[0:1]
	global_store_dword v[0:1], v6, off
	s_and_b64 exec, exec, vcc
	s_cbranch_execz .LBB0_15
; %bb.14:
	global_load_dword v6, v[36:37], off offset:68
	ds_read_b32 v7, v91 offset:68
	v_mov_b32_e32 v10, 0xfffffa04
	v_mad_u64_u32 v[10:11], s[0:1], s8, v10, v[0:1]
	s_mul_i32 s0, s9, 0xfffffa04
	s_waitcnt lgkmcnt(0)
	v_lshrrev_b32_e32 v8, 16, v7
	s_sub_i32 s0, s0, s8
	v_add_u32_e32 v11, s0, v11
	s_waitcnt vmcnt(0)
	v_mul_f16_sdwa v9, v8, v6 dst_sel:DWORD dst_unused:UNUSED_PAD src0_sel:DWORD src1_sel:WORD_1
	v_fma_f16 v9, v7, v6, v9
	v_mul_f16_sdwa v7, v7, v6 dst_sel:DWORD dst_unused:UNUSED_PAD src0_sel:DWORD src1_sel:WORD_1
	v_cvt_f32_f16_e32 v9, v9
	v_fma_f16 v6, v6, v8, -v7
	v_cvt_f32_f16_e32 v8, v6
	v_cvt_f64_f32_e32 v[6:7], v9
	v_cvt_f64_f32_e32 v[8:9], v8
	v_mul_f64 v[6:7], v[6:7], s[12:13]
	v_mul_f64 v[0:1], v[8:9], s[12:13]
	v_and_or_b32 v6, v7, s15, v6
	v_cmp_ne_u32_e32 vcc, 0, v6
	v_and_or_b32 v0, v1, s15, v0
	v_lshrrev_b32_e32 v8, 8, v7
	v_bfe_u32 v9, v7, 20, 11
	v_cndmask_b32_e64 v6, 0, 1, vcc
	v_cmp_ne_u32_e32 vcc, 0, v0
	v_lshrrev_b32_e32 v12, 8, v1
	v_bfe_u32 v13, v1, 20, 11
	v_sub_u32_e32 v14, 0x3f1, v9
	v_cndmask_b32_e64 v0, 0, 1, vcc
	v_and_or_b32 v6, v8, s10, v6
	v_sub_u32_e32 v15, 0x3f1, v13
	v_med3_i32 v8, v14, 0, 13
	v_and_or_b32 v0, v12, s10, v0
	v_or_b32_e32 v14, 0x1000, v6
	v_add_u32_e32 v9, 0xfffffc10, v9
	v_med3_i32 v12, v15, 0, 13
	v_cmp_ne_u32_e32 vcc, 0, v6
	v_or_b32_e32 v16, 0x1000, v0
	v_lshrrev_b32_e32 v18, v8, v14
	v_add_u32_e32 v13, 0xfffffc10, v13
	v_lshl_or_b32 v15, v9, 12, v6
	v_cndmask_b32_e64 v6, 0, 1, vcc
	v_cmp_ne_u32_e32 vcc, 0, v0
	v_lshrrev_b32_e32 v19, v12, v16
	v_lshlrev_b32_e32 v8, v8, v18
	v_lshl_or_b32 v17, v13, 12, v0
	v_cndmask_b32_e64 v0, 0, 1, vcc
	v_lshlrev_b32_e32 v12, v12, v19
	v_cmp_ne_u32_e32 vcc, v8, v14
	v_cndmask_b32_e64 v8, 0, 1, vcc
	v_cmp_ne_u32_e32 vcc, v12, v16
	v_cndmask_b32_e64 v12, 0, 1, vcc
	v_or_b32_e32 v8, v18, v8
	v_cmp_gt_i32_e32 vcc, 1, v9
	v_cndmask_b32_e32 v8, v15, v8, vcc
	v_or_b32_e32 v12, v19, v12
	v_cmp_gt_i32_e32 vcc, 1, v13
	v_and_b32_e32 v14, 7, v8
	v_cndmask_b32_e32 v12, v17, v12, vcc
	v_cmp_lt_i32_e32 vcc, 5, v14
	v_cmp_eq_u32_e64 s[0:1], 3, v14
	v_lshrrev_b32_e32 v8, 2, v8
	v_and_b32_e32 v15, 7, v12
	s_or_b64 vcc, s[0:1], vcc
	v_cmp_lt_i32_e64 s[2:3], 5, v15
	v_cmp_eq_u32_e64 s[4:5], 3, v15
	v_addc_co_u32_e32 v8, vcc, 0, v8, vcc
	v_lshrrev_b32_e32 v12, 2, v12
	s_or_b64 vcc, s[4:5], s[2:3]
	v_addc_co_u32_e32 v12, vcc, 0, v12, vcc
	v_cmp_gt_i32_e32 vcc, 31, v9
	v_cndmask_b32_e32 v8, v2, v8, vcc
	v_cmp_gt_i32_e32 vcc, 31, v13
	v_lshl_or_b32 v6, v6, 9, v2
	v_cndmask_b32_e32 v12, v2, v12, vcc
	v_cmp_eq_u32_e32 vcc, s11, v9
	v_lshrrev_b32_e32 v7, 16, v7
	v_lshl_or_b32 v0, v0, 9, v2
	v_cndmask_b32_e32 v6, v8, v6, vcc
	v_cmp_eq_u32_e32 vcc, s11, v13
	v_lshrrev_b32_e32 v1, 16, v1
	v_cndmask_b32_e32 v0, v12, v0, vcc
	v_and_or_b32 v6, v7, s14, v6
	v_and_or_b32 v0, v1, s14, v0
	v_and_b32_e32 v1, 0xffff, v6
	v_lshl_or_b32 v0, v0, 16, v1
	global_store_dword v[10:11], v0, off
	global_load_dword v6, v[36:37], off offset:168
	ds_read2_b32 v[0:1], v72 offset0:42 offset1:67
	v_add_co_u32_e32 v10, vcc, s6, v10
	s_waitcnt lgkmcnt(0)
	v_lshrrev_b32_e32 v7, 16, v0
	s_waitcnt vmcnt(0)
	v_mul_f16_sdwa v8, v7, v6 dst_sel:DWORD dst_unused:UNUSED_PAD src0_sel:DWORD src1_sel:WORD_1
	v_fma_f16 v8, v0, v6, v8
	v_mul_f16_sdwa v0, v0, v6 dst_sel:DWORD dst_unused:UNUSED_PAD src0_sel:DWORD src1_sel:WORD_1
	v_cvt_f32_f16_e32 v8, v8
	v_fma_f16 v0, v6, v7, -v0
	v_cvt_f32_f16_e32 v0, v0
	v_cvt_f64_f32_e32 v[6:7], v8
	v_cvt_f64_f32_e32 v[8:9], v0
	v_mov_b32_e32 v0, s7
	v_mul_f64 v[6:7], v[6:7], s[12:13]
	v_addc_co_u32_e32 v11, vcc, v11, v0, vcc
	v_mul_f64 v[8:9], v[8:9], s[12:13]
	s_mul_i32 s7, s9, 0xc8
	v_and_or_b32 v6, v7, s15, v6
	v_cmp_ne_u32_e32 vcc, 0, v6
	v_lshrrev_b32_e32 v12, 8, v7
	v_and_or_b32 v8, v9, s15, v8
	v_bfe_u32 v13, v7, 20, 11
	v_cndmask_b32_e64 v6, 0, 1, vcc
	v_cmp_ne_u32_e32 vcc, 0, v8
	v_lshrrev_b32_e32 v14, 8, v9
	v_bfe_u32 v15, v9, 20, 11
	v_sub_u32_e32 v16, 0x3f1, v13
	v_cndmask_b32_e64 v8, 0, 1, vcc
	v_and_or_b32 v6, v12, s10, v6
	v_sub_u32_e32 v17, 0x3f1, v15
	v_med3_i32 v12, v16, 0, 13
	v_and_or_b32 v8, v14, s10, v8
	v_or_b32_e32 v16, 0x1000, v6
	v_add_u32_e32 v13, 0xfffffc10, v13
	v_med3_i32 v14, v17, 0, 13
	v_cmp_ne_u32_e32 vcc, 0, v6
	v_or_b32_e32 v18, 0x1000, v8
	v_lshrrev_b32_e32 v20, v12, v16
	v_add_u32_e32 v15, 0xfffffc10, v15
	v_lshl_or_b32 v17, v13, 12, v6
	v_cndmask_b32_e64 v6, 0, 1, vcc
	v_cmp_ne_u32_e32 vcc, 0, v8
	v_lshrrev_b32_e32 v21, v14, v18
	v_lshlrev_b32_e32 v12, v12, v20
	v_lshl_or_b32 v19, v15, 12, v8
	v_cndmask_b32_e64 v8, 0, 1, vcc
	v_lshlrev_b32_e32 v14, v14, v21
	v_cmp_ne_u32_e32 vcc, v12, v16
	v_cndmask_b32_e64 v12, 0, 1, vcc
	v_cmp_ne_u32_e32 vcc, v14, v18
	v_cndmask_b32_e64 v14, 0, 1, vcc
	v_or_b32_e32 v12, v20, v12
	v_cmp_gt_i32_e32 vcc, 1, v13
	v_cndmask_b32_e32 v12, v17, v12, vcc
	v_or_b32_e32 v14, v21, v14
	v_cmp_gt_i32_e32 vcc, 1, v15
	v_and_b32_e32 v16, 7, v12
	v_cndmask_b32_e32 v14, v19, v14, vcc
	v_cmp_lt_i32_e32 vcc, 5, v16
	v_cmp_eq_u32_e64 s[0:1], 3, v16
	v_lshrrev_b32_e32 v12, 2, v12
	v_and_b32_e32 v17, 7, v14
	s_or_b64 vcc, s[0:1], vcc
	v_cmp_lt_i32_e64 s[2:3], 5, v17
	v_cmp_eq_u32_e64 s[4:5], 3, v17
	v_addc_co_u32_e32 v12, vcc, 0, v12, vcc
	v_lshrrev_b32_e32 v14, 2, v14
	s_or_b64 vcc, s[4:5], s[2:3]
	v_addc_co_u32_e32 v14, vcc, 0, v14, vcc
	v_cmp_gt_i32_e32 vcc, 31, v13
	v_cndmask_b32_e32 v12, v2, v12, vcc
	v_cmp_gt_i32_e32 vcc, 31, v15
	v_lshl_or_b32 v6, v6, 9, v2
	v_cndmask_b32_e32 v14, v2, v14, vcc
	v_cmp_eq_u32_e32 vcc, s11, v13
	v_lshrrev_b32_e32 v7, 16, v7
	v_lshl_or_b32 v8, v8, 9, v2
	v_cndmask_b32_e32 v6, v12, v6, vcc
	v_cmp_eq_u32_e32 vcc, s11, v15
	v_lshrrev_b32_e32 v9, 16, v9
	v_cndmask_b32_e32 v8, v14, v8, vcc
	v_and_or_b32 v6, v7, s14, v6
	v_and_or_b32 v7, v9, s14, v8
	v_and_b32_e32 v6, 0xffff, v6
	v_lshl_or_b32 v6, v7, 16, v6
	global_store_dword v[10:11], v6, off
	global_load_dword v6, v[36:37], off offset:268
	v_lshrrev_b32_e32 v7, 16, v1
	v_add_co_u32_e32 v10, vcc, s6, v10
	v_addc_co_u32_e32 v11, vcc, v11, v0, vcc
	s_waitcnt vmcnt(0)
	v_mul_f16_sdwa v8, v7, v6 dst_sel:DWORD dst_unused:UNUSED_PAD src0_sel:DWORD src1_sel:WORD_1
	v_fma_f16 v8, v1, v6, v8
	v_mul_f16_sdwa v1, v1, v6 dst_sel:DWORD dst_unused:UNUSED_PAD src0_sel:DWORD src1_sel:WORD_1
	v_cvt_f32_f16_e32 v8, v8
	v_fma_f16 v1, v6, v7, -v1
	v_cvt_f32_f16_e32 v1, v1
	v_cvt_f64_f32_e32 v[6:7], v8
	v_cvt_f64_f32_e32 v[8:9], v1
	v_mul_f64 v[6:7], v[6:7], s[12:13]
	v_mul_f64 v[8:9], v[8:9], s[12:13]
	v_and_or_b32 v1, v7, s15, v6
	v_cmp_ne_u32_e32 vcc, 0, v1
	v_and_or_b32 v8, v9, s15, v8
	v_lshrrev_b32_e32 v6, 8, v7
	v_bfe_u32 v12, v7, 20, 11
	v_cndmask_b32_e64 v1, 0, 1, vcc
	v_cmp_ne_u32_e32 vcc, 0, v8
	v_lshrrev_b32_e32 v13, 8, v9
	v_bfe_u32 v14, v9, 20, 11
	v_sub_u32_e32 v15, 0x3f1, v12
	v_cndmask_b32_e64 v8, 0, 1, vcc
	v_and_or_b32 v1, v6, s10, v1
	v_sub_u32_e32 v16, 0x3f1, v14
	v_med3_i32 v6, v15, 0, 13
	v_and_or_b32 v8, v13, s10, v8
	v_or_b32_e32 v15, 0x1000, v1
	v_add_u32_e32 v12, 0xfffffc10, v12
	v_med3_i32 v13, v16, 0, 13
	v_cmp_ne_u32_e32 vcc, 0, v1
	v_or_b32_e32 v17, 0x1000, v8
	v_lshrrev_b32_e32 v19, v6, v15
	v_add_u32_e32 v14, 0xfffffc10, v14
	v_lshl_or_b32 v16, v12, 12, v1
	v_cndmask_b32_e64 v1, 0, 1, vcc
	v_cmp_ne_u32_e32 vcc, 0, v8
	v_lshrrev_b32_e32 v20, v13, v17
	v_lshlrev_b32_e32 v6, v6, v19
	v_lshl_or_b32 v18, v14, 12, v8
	v_cndmask_b32_e64 v8, 0, 1, vcc
	v_lshlrev_b32_e32 v13, v13, v20
	v_cmp_ne_u32_e32 vcc, v6, v15
	v_cndmask_b32_e64 v6, 0, 1, vcc
	v_cmp_ne_u32_e32 vcc, v13, v17
	v_cndmask_b32_e64 v13, 0, 1, vcc
	v_or_b32_e32 v6, v19, v6
	v_cmp_gt_i32_e32 vcc, 1, v12
	v_cndmask_b32_e32 v6, v16, v6, vcc
	v_or_b32_e32 v13, v20, v13
	v_cmp_gt_i32_e32 vcc, 1, v14
	v_and_b32_e32 v15, 7, v6
	v_cndmask_b32_e32 v13, v18, v13, vcc
	v_cmp_lt_i32_e32 vcc, 5, v15
	v_cmp_eq_u32_e64 s[0:1], 3, v15
	v_lshrrev_b32_e32 v6, 2, v6
	v_and_b32_e32 v16, 7, v13
	s_or_b64 vcc, s[0:1], vcc
	v_cmp_lt_i32_e64 s[2:3], 5, v16
	v_cmp_eq_u32_e64 s[4:5], 3, v16
	v_addc_co_u32_e32 v6, vcc, 0, v6, vcc
	v_lshrrev_b32_e32 v13, 2, v13
	s_or_b64 vcc, s[4:5], s[2:3]
	v_addc_co_u32_e32 v13, vcc, 0, v13, vcc
	v_cmp_gt_i32_e32 vcc, 31, v12
	v_cndmask_b32_e32 v6, v2, v6, vcc
	v_cmp_gt_i32_e32 vcc, 31, v14
	v_lshl_or_b32 v1, v1, 9, v2
	v_cndmask_b32_e32 v13, v2, v13, vcc
	v_cmp_eq_u32_e32 vcc, s11, v12
	v_lshrrev_b32_e32 v7, 16, v7
	v_lshl_or_b32 v8, v8, 9, v2
	v_cndmask_b32_e32 v1, v6, v1, vcc
	v_cmp_eq_u32_e32 vcc, s11, v14
	v_lshrrev_b32_e32 v9, 16, v9
	v_cndmask_b32_e32 v6, v13, v8, vcc
	v_and_or_b32 v1, v7, s14, v1
	v_and_or_b32 v6, v9, s14, v6
	v_and_b32_e32 v1, 0xffff, v1
	v_lshl_or_b32 v1, v6, 16, v1
	global_store_dword v[10:11], v1, off
	global_load_dword v1, v[36:37], off offset:368
	ds_read2_b32 v[6:7], v72 offset0:92 offset1:117
	v_add_co_u32_e32 v10, vcc, s6, v10
	v_addc_co_u32_e32 v11, vcc, v11, v0, vcc
	s_waitcnt lgkmcnt(0)
	v_lshrrev_b32_e32 v8, 16, v6
	s_waitcnt vmcnt(0)
	v_mul_f16_sdwa v9, v8, v1 dst_sel:DWORD dst_unused:UNUSED_PAD src0_sel:DWORD src1_sel:WORD_1
	v_fma_f16 v9, v6, v1, v9
	v_mul_f16_sdwa v6, v6, v1 dst_sel:DWORD dst_unused:UNUSED_PAD src0_sel:DWORD src1_sel:WORD_1
	v_cvt_f32_f16_e32 v9, v9
	v_fma_f16 v1, v1, v8, -v6
	v_cvt_f32_f16_e32 v1, v1
	v_cvt_f64_f32_e32 v[8:9], v9
	v_cvt_f64_f32_e32 v[12:13], v1
	v_mul_f64 v[8:9], v[8:9], s[12:13]
	v_mul_f64 v[12:13], v[12:13], s[12:13]
	v_and_or_b32 v1, v9, s15, v8
	v_cmp_ne_u32_e32 vcc, 0, v1
	v_and_or_b32 v12, v13, s15, v12
	v_lshrrev_b32_e32 v6, 8, v9
	v_bfe_u32 v8, v9, 20, 11
	v_cndmask_b32_e64 v1, 0, 1, vcc
	v_cmp_ne_u32_e32 vcc, 0, v12
	v_lshrrev_b32_e32 v14, 8, v13
	v_bfe_u32 v15, v13, 20, 11
	v_sub_u32_e32 v16, 0x3f1, v8
	v_cndmask_b32_e64 v12, 0, 1, vcc
	v_and_or_b32 v1, v6, s10, v1
	v_sub_u32_e32 v17, 0x3f1, v15
	v_med3_i32 v6, v16, 0, 13
	v_and_or_b32 v12, v14, s10, v12
	v_or_b32_e32 v16, 0x1000, v1
	v_add_u32_e32 v8, 0xfffffc10, v8
	v_med3_i32 v14, v17, 0, 13
	v_cmp_ne_u32_e32 vcc, 0, v1
	v_or_b32_e32 v18, 0x1000, v12
	v_lshrrev_b32_e32 v20, v6, v16
	v_add_u32_e32 v15, 0xfffffc10, v15
	v_lshl_or_b32 v17, v8, 12, v1
	v_cndmask_b32_e64 v1, 0, 1, vcc
	v_cmp_ne_u32_e32 vcc, 0, v12
	v_lshrrev_b32_e32 v21, v14, v18
	v_lshlrev_b32_e32 v6, v6, v20
	v_lshl_or_b32 v19, v15, 12, v12
	v_cndmask_b32_e64 v12, 0, 1, vcc
	v_lshlrev_b32_e32 v14, v14, v21
	v_cmp_ne_u32_e32 vcc, v6, v16
	v_cndmask_b32_e64 v6, 0, 1, vcc
	v_cmp_ne_u32_e32 vcc, v14, v18
	v_cndmask_b32_e64 v14, 0, 1, vcc
	v_or_b32_e32 v6, v20, v6
	v_cmp_gt_i32_e32 vcc, 1, v8
	v_cndmask_b32_e32 v6, v17, v6, vcc
	v_or_b32_e32 v14, v21, v14
	v_cmp_gt_i32_e32 vcc, 1, v15
	v_and_b32_e32 v16, 7, v6
	v_cndmask_b32_e32 v14, v19, v14, vcc
	v_cmp_lt_i32_e32 vcc, 5, v16
	v_cmp_eq_u32_e64 s[0:1], 3, v16
	v_lshrrev_b32_e32 v6, 2, v6
	v_and_b32_e32 v17, 7, v14
	s_or_b64 vcc, s[0:1], vcc
	v_cmp_lt_i32_e64 s[2:3], 5, v17
	v_cmp_eq_u32_e64 s[4:5], 3, v17
	v_addc_co_u32_e32 v6, vcc, 0, v6, vcc
	v_lshrrev_b32_e32 v14, 2, v14
	s_or_b64 vcc, s[4:5], s[2:3]
	v_addc_co_u32_e32 v14, vcc, 0, v14, vcc
	v_cmp_gt_i32_e32 vcc, 31, v8
	v_cndmask_b32_e32 v6, v2, v6, vcc
	v_cmp_gt_i32_e32 vcc, 31, v15
	v_lshl_or_b32 v1, v1, 9, v2
	v_cndmask_b32_e32 v14, v2, v14, vcc
	v_cmp_eq_u32_e32 vcc, s11, v8
	v_lshrrev_b32_e32 v9, 16, v9
	v_lshl_or_b32 v12, v12, 9, v2
	v_cndmask_b32_e32 v1, v6, v1, vcc
	v_cmp_eq_u32_e32 vcc, s11, v15
	v_lshrrev_b32_e32 v13, 16, v13
	v_cndmask_b32_e32 v6, v14, v12, vcc
	v_and_or_b32 v1, v9, s14, v1
	v_and_or_b32 v6, v13, s14, v6
	v_and_b32_e32 v1, 0xffff, v1
	v_lshl_or_b32 v1, v6, 16, v1
	global_store_dword v[10:11], v1, off
	global_load_dword v1, v[36:37], off offset:468
	v_lshrrev_b32_e32 v6, 16, v7
	v_add_co_u32_e32 v10, vcc, s6, v10
	v_addc_co_u32_e32 v11, vcc, v11, v0, vcc
	s_waitcnt vmcnt(0)
	v_mul_f16_sdwa v8, v6, v1 dst_sel:DWORD dst_unused:UNUSED_PAD src0_sel:DWORD src1_sel:WORD_1
	v_fma_f16 v8, v7, v1, v8
	v_mul_f16_sdwa v7, v7, v1 dst_sel:DWORD dst_unused:UNUSED_PAD src0_sel:DWORD src1_sel:WORD_1
	v_cvt_f32_f16_e32 v8, v8
	v_fma_f16 v1, v1, v6, -v7
	v_cvt_f32_f16_e32 v1, v1
	v_cvt_f64_f32_e32 v[6:7], v8
	v_cvt_f64_f32_e32 v[8:9], v1
	v_mul_f64 v[6:7], v[6:7], s[12:13]
	v_mul_f64 v[8:9], v[8:9], s[12:13]
	v_and_or_b32 v1, v7, s15, v6
	v_cmp_ne_u32_e32 vcc, 0, v1
	v_and_or_b32 v8, v9, s15, v8
	v_lshrrev_b32_e32 v6, 8, v7
	v_bfe_u32 v12, v7, 20, 11
	v_cndmask_b32_e64 v1, 0, 1, vcc
	v_cmp_ne_u32_e32 vcc, 0, v8
	v_lshrrev_b32_e32 v13, 8, v9
	v_bfe_u32 v14, v9, 20, 11
	v_sub_u32_e32 v15, 0x3f1, v12
	v_cndmask_b32_e64 v8, 0, 1, vcc
	v_and_or_b32 v1, v6, s10, v1
	v_sub_u32_e32 v16, 0x3f1, v14
	v_med3_i32 v6, v15, 0, 13
	v_and_or_b32 v8, v13, s10, v8
	v_or_b32_e32 v15, 0x1000, v1
	v_add_u32_e32 v12, 0xfffffc10, v12
	v_med3_i32 v13, v16, 0, 13
	v_cmp_ne_u32_e32 vcc, 0, v1
	v_or_b32_e32 v17, 0x1000, v8
	v_lshrrev_b32_e32 v19, v6, v15
	v_add_u32_e32 v14, 0xfffffc10, v14
	v_lshl_or_b32 v16, v12, 12, v1
	v_cndmask_b32_e64 v1, 0, 1, vcc
	v_cmp_ne_u32_e32 vcc, 0, v8
	v_lshrrev_b32_e32 v20, v13, v17
	v_lshlrev_b32_e32 v6, v6, v19
	v_lshl_or_b32 v18, v14, 12, v8
	v_cndmask_b32_e64 v8, 0, 1, vcc
	v_lshlrev_b32_e32 v13, v13, v20
	v_cmp_ne_u32_e32 vcc, v6, v15
	v_cndmask_b32_e64 v6, 0, 1, vcc
	v_cmp_ne_u32_e32 vcc, v13, v17
	v_cndmask_b32_e64 v13, 0, 1, vcc
	v_or_b32_e32 v6, v19, v6
	v_cmp_gt_i32_e32 vcc, 1, v12
	v_cndmask_b32_e32 v6, v16, v6, vcc
	v_or_b32_e32 v13, v20, v13
	v_cmp_gt_i32_e32 vcc, 1, v14
	v_and_b32_e32 v15, 7, v6
	v_cndmask_b32_e32 v13, v18, v13, vcc
	v_cmp_lt_i32_e32 vcc, 5, v15
	v_cmp_eq_u32_e64 s[0:1], 3, v15
	v_lshrrev_b32_e32 v6, 2, v6
	v_and_b32_e32 v16, 7, v13
	s_or_b64 vcc, s[0:1], vcc
	v_cmp_lt_i32_e64 s[2:3], 5, v16
	v_cmp_eq_u32_e64 s[4:5], 3, v16
	v_addc_co_u32_e32 v6, vcc, 0, v6, vcc
	v_lshrrev_b32_e32 v13, 2, v13
	s_or_b64 vcc, s[4:5], s[2:3]
	v_addc_co_u32_e32 v13, vcc, 0, v13, vcc
	v_cmp_gt_i32_e32 vcc, 31, v12
	v_cndmask_b32_e32 v6, v2, v6, vcc
	v_cmp_gt_i32_e32 vcc, 31, v14
	v_lshl_or_b32 v1, v1, 9, v2
	v_cndmask_b32_e32 v13, v2, v13, vcc
	v_cmp_eq_u32_e32 vcc, s11, v12
	v_lshrrev_b32_e32 v7, 16, v7
	v_lshl_or_b32 v8, v8, 9, v2
	v_cndmask_b32_e32 v1, v6, v1, vcc
	v_cmp_eq_u32_e32 vcc, s11, v14
	v_lshrrev_b32_e32 v9, 16, v9
	v_cndmask_b32_e32 v6, v13, v8, vcc
	v_and_or_b32 v1, v7, s14, v1
	v_and_or_b32 v6, v9, s14, v6
	v_and_b32_e32 v1, 0xffff, v1
	v_lshl_or_b32 v1, v6, 16, v1
	global_store_dword v[10:11], v1, off
	global_load_dword v1, v[36:37], off offset:568
	ds_read2_b32 v[6:7], v72 offset0:142 offset1:167
	v_add_co_u32_e32 v10, vcc, s6, v10
	v_addc_co_u32_e32 v11, vcc, v11, v0, vcc
	s_waitcnt lgkmcnt(0)
	v_lshrrev_b32_e32 v8, 16, v6
	s_waitcnt vmcnt(0)
	v_mul_f16_sdwa v9, v8, v1 dst_sel:DWORD dst_unused:UNUSED_PAD src0_sel:DWORD src1_sel:WORD_1
	v_fma_f16 v9, v6, v1, v9
	v_mul_f16_sdwa v6, v6, v1 dst_sel:DWORD dst_unused:UNUSED_PAD src0_sel:DWORD src1_sel:WORD_1
	v_cvt_f32_f16_e32 v9, v9
	v_fma_f16 v1, v1, v8, -v6
	v_cvt_f32_f16_e32 v1, v1
	v_cvt_f64_f32_e32 v[8:9], v9
	v_cvt_f64_f32_e32 v[12:13], v1
	v_mul_f64 v[8:9], v[8:9], s[12:13]
	v_mul_f64 v[12:13], v[12:13], s[12:13]
	v_and_or_b32 v1, v9, s15, v8
	v_cmp_ne_u32_e32 vcc, 0, v1
	v_and_or_b32 v12, v13, s15, v12
	v_lshrrev_b32_e32 v6, 8, v9
	v_bfe_u32 v8, v9, 20, 11
	v_cndmask_b32_e64 v1, 0, 1, vcc
	v_cmp_ne_u32_e32 vcc, 0, v12
	v_lshrrev_b32_e32 v14, 8, v13
	v_bfe_u32 v15, v13, 20, 11
	v_sub_u32_e32 v16, 0x3f1, v8
	v_cndmask_b32_e64 v12, 0, 1, vcc
	v_and_or_b32 v1, v6, s10, v1
	v_sub_u32_e32 v17, 0x3f1, v15
	v_med3_i32 v6, v16, 0, 13
	v_and_or_b32 v12, v14, s10, v12
	v_or_b32_e32 v16, 0x1000, v1
	v_add_u32_e32 v8, 0xfffffc10, v8
	v_med3_i32 v14, v17, 0, 13
	v_cmp_ne_u32_e32 vcc, 0, v1
	v_or_b32_e32 v18, 0x1000, v12
	v_lshrrev_b32_e32 v20, v6, v16
	v_add_u32_e32 v15, 0xfffffc10, v15
	v_lshl_or_b32 v17, v8, 12, v1
	v_cndmask_b32_e64 v1, 0, 1, vcc
	v_cmp_ne_u32_e32 vcc, 0, v12
	v_lshrrev_b32_e32 v21, v14, v18
	v_lshlrev_b32_e32 v6, v6, v20
	v_lshl_or_b32 v19, v15, 12, v12
	v_cndmask_b32_e64 v12, 0, 1, vcc
	v_lshlrev_b32_e32 v14, v14, v21
	v_cmp_ne_u32_e32 vcc, v6, v16
	v_cndmask_b32_e64 v6, 0, 1, vcc
	v_cmp_ne_u32_e32 vcc, v14, v18
	v_cndmask_b32_e64 v14, 0, 1, vcc
	v_or_b32_e32 v6, v20, v6
	v_cmp_gt_i32_e32 vcc, 1, v8
	v_cndmask_b32_e32 v6, v17, v6, vcc
	v_or_b32_e32 v14, v21, v14
	v_cmp_gt_i32_e32 vcc, 1, v15
	v_and_b32_e32 v16, 7, v6
	v_cndmask_b32_e32 v14, v19, v14, vcc
	v_cmp_lt_i32_e32 vcc, 5, v16
	v_cmp_eq_u32_e64 s[0:1], 3, v16
	v_lshrrev_b32_e32 v6, 2, v6
	v_and_b32_e32 v17, 7, v14
	s_or_b64 vcc, s[0:1], vcc
	v_cmp_lt_i32_e64 s[2:3], 5, v17
	v_cmp_eq_u32_e64 s[4:5], 3, v17
	v_addc_co_u32_e32 v6, vcc, 0, v6, vcc
	v_lshrrev_b32_e32 v14, 2, v14
	s_or_b64 vcc, s[4:5], s[2:3]
	v_addc_co_u32_e32 v14, vcc, 0, v14, vcc
	v_cmp_gt_i32_e32 vcc, 31, v8
	v_cndmask_b32_e32 v6, v2, v6, vcc
	v_cmp_gt_i32_e32 vcc, 31, v15
	v_lshl_or_b32 v1, v1, 9, v2
	v_cndmask_b32_e32 v14, v2, v14, vcc
	v_cmp_eq_u32_e32 vcc, s11, v8
	v_lshrrev_b32_e32 v9, 16, v9
	v_lshl_or_b32 v12, v12, 9, v2
	v_cndmask_b32_e32 v1, v6, v1, vcc
	v_cmp_eq_u32_e32 vcc, s11, v15
	v_lshrrev_b32_e32 v13, 16, v13
	v_cndmask_b32_e32 v6, v14, v12, vcc
	v_and_or_b32 v1, v9, s14, v1
	v_and_or_b32 v6, v13, s14, v6
	v_and_b32_e32 v1, 0xffff, v1
	v_lshl_or_b32 v1, v6, 16, v1
	global_store_dword v[10:11], v1, off
	global_load_dword v1, v[36:37], off offset:668
	v_lshrrev_b32_e32 v6, 16, v7
	v_add_co_u32_e32 v10, vcc, s6, v10
	v_addc_co_u32_e32 v11, vcc, v11, v0, vcc
	s_waitcnt vmcnt(0)
	v_mul_f16_sdwa v8, v6, v1 dst_sel:DWORD dst_unused:UNUSED_PAD src0_sel:DWORD src1_sel:WORD_1
	v_fma_f16 v8, v7, v1, v8
	v_mul_f16_sdwa v7, v7, v1 dst_sel:DWORD dst_unused:UNUSED_PAD src0_sel:DWORD src1_sel:WORD_1
	v_cvt_f32_f16_e32 v8, v8
	v_fma_f16 v1, v1, v6, -v7
	v_cvt_f32_f16_e32 v1, v1
	v_cvt_f64_f32_e32 v[6:7], v8
	v_cvt_f64_f32_e32 v[8:9], v1
	v_mul_f64 v[6:7], v[6:7], s[12:13]
	v_mul_f64 v[8:9], v[8:9], s[12:13]
	v_and_or_b32 v1, v7, s15, v6
	v_cmp_ne_u32_e32 vcc, 0, v1
	v_and_or_b32 v8, v9, s15, v8
	v_lshrrev_b32_e32 v6, 8, v7
	v_bfe_u32 v12, v7, 20, 11
	v_cndmask_b32_e64 v1, 0, 1, vcc
	v_cmp_ne_u32_e32 vcc, 0, v8
	v_lshrrev_b32_e32 v13, 8, v9
	v_bfe_u32 v14, v9, 20, 11
	v_sub_u32_e32 v15, 0x3f1, v12
	v_cndmask_b32_e64 v8, 0, 1, vcc
	v_and_or_b32 v1, v6, s10, v1
	v_sub_u32_e32 v16, 0x3f1, v14
	v_med3_i32 v6, v15, 0, 13
	v_and_or_b32 v8, v13, s10, v8
	v_or_b32_e32 v15, 0x1000, v1
	v_add_u32_e32 v12, 0xfffffc10, v12
	v_med3_i32 v13, v16, 0, 13
	v_cmp_ne_u32_e32 vcc, 0, v1
	v_or_b32_e32 v17, 0x1000, v8
	v_lshrrev_b32_e32 v19, v6, v15
	v_add_u32_e32 v14, 0xfffffc10, v14
	v_lshl_or_b32 v16, v12, 12, v1
	v_cndmask_b32_e64 v1, 0, 1, vcc
	v_cmp_ne_u32_e32 vcc, 0, v8
	v_lshrrev_b32_e32 v20, v13, v17
	v_lshlrev_b32_e32 v6, v6, v19
	v_lshl_or_b32 v18, v14, 12, v8
	v_cndmask_b32_e64 v8, 0, 1, vcc
	v_lshlrev_b32_e32 v13, v13, v20
	v_cmp_ne_u32_e32 vcc, v6, v15
	v_cndmask_b32_e64 v6, 0, 1, vcc
	v_cmp_ne_u32_e32 vcc, v13, v17
	v_cndmask_b32_e64 v13, 0, 1, vcc
	v_or_b32_e32 v6, v19, v6
	v_cmp_gt_i32_e32 vcc, 1, v12
	v_cndmask_b32_e32 v6, v16, v6, vcc
	v_or_b32_e32 v13, v20, v13
	v_cmp_gt_i32_e32 vcc, 1, v14
	v_and_b32_e32 v15, 7, v6
	v_cndmask_b32_e32 v13, v18, v13, vcc
	v_cmp_lt_i32_e32 vcc, 5, v15
	v_cmp_eq_u32_e64 s[0:1], 3, v15
	v_lshrrev_b32_e32 v6, 2, v6
	v_and_b32_e32 v16, 7, v13
	s_or_b64 vcc, s[0:1], vcc
	v_cmp_lt_i32_e64 s[2:3], 5, v16
	v_cmp_eq_u32_e64 s[4:5], 3, v16
	v_addc_co_u32_e32 v6, vcc, 0, v6, vcc
	v_lshrrev_b32_e32 v13, 2, v13
	s_or_b64 vcc, s[4:5], s[2:3]
	v_addc_co_u32_e32 v13, vcc, 0, v13, vcc
	v_cmp_gt_i32_e32 vcc, 31, v12
	v_cndmask_b32_e32 v6, v2, v6, vcc
	v_cmp_gt_i32_e32 vcc, 31, v14
	v_lshl_or_b32 v1, v1, 9, v2
	v_cndmask_b32_e32 v13, v2, v13, vcc
	v_cmp_eq_u32_e32 vcc, s11, v12
	v_lshrrev_b32_e32 v7, 16, v7
	v_lshl_or_b32 v8, v8, 9, v2
	v_cndmask_b32_e32 v1, v6, v1, vcc
	v_cmp_eq_u32_e32 vcc, s11, v14
	v_lshrrev_b32_e32 v9, 16, v9
	v_cndmask_b32_e32 v6, v13, v8, vcc
	v_and_or_b32 v1, v7, s14, v1
	v_and_or_b32 v6, v9, s14, v6
	v_and_b32_e32 v1, 0xffff, v1
	v_lshl_or_b32 v1, v6, 16, v1
	global_store_dword v[10:11], v1, off
	global_load_dword v12, v[36:37], off offset:768
	ds_read2_b32 v[6:7], v72 offset0:192 offset1:217
	v_or_b32_e32 v14, 0xc0, v71
	v_mad_u64_u32 v[8:9], s[0:1], s8, v14, 0
	s_waitcnt lgkmcnt(0)
	v_lshrrev_b32_e32 v13, 16, v6
	v_mov_b32_e32 v1, v9
	v_mad_u64_u32 v[14:15], s[0:1], s9, v14, v[1:2]
	s_waitcnt vmcnt(0)
	v_mul_f16_sdwa v9, v13, v12 dst_sel:DWORD dst_unused:UNUSED_PAD src0_sel:DWORD src1_sel:WORD_1
	v_fma_f16 v9, v6, v12, v9
	v_mul_f16_sdwa v6, v6, v12 dst_sel:DWORD dst_unused:UNUSED_PAD src0_sel:DWORD src1_sel:WORD_1
	v_cvt_f32_f16_e32 v9, v9
	v_fma_f16 v6, v12, v13, -v6
	v_cvt_f32_f16_e32 v6, v6
	v_cvt_f64_f32_e32 v[12:13], v9
	v_mov_b32_e32 v9, v14
	v_cvt_f64_f32_e32 v[15:16], v6
	v_lshlrev_b64 v[8:9], 2, v[8:9]
	v_mul_f64 v[12:13], v[12:13], s[12:13]
	v_add_co_u32_e32 v8, vcc, v3, v8
	v_mul_f64 v[14:15], v[15:16], s[12:13]
	v_addc_co_u32_e32 v9, vcc, v4, v9, vcc
	v_and_or_b32 v1, v13, s15, v12
	v_cmp_ne_u32_e32 vcc, 0, v1
	v_lshrrev_b32_e32 v6, 8, v13
	v_and_or_b32 v14, v15, s15, v14
	v_bfe_u32 v12, v13, 20, 11
	v_cndmask_b32_e64 v1, 0, 1, vcc
	v_cmp_ne_u32_e32 vcc, 0, v14
	v_lshrrev_b32_e32 v16, 8, v15
	v_bfe_u32 v17, v15, 20, 11
	v_sub_u32_e32 v18, 0x3f1, v12
	v_cndmask_b32_e64 v14, 0, 1, vcc
	v_and_or_b32 v1, v6, s10, v1
	v_sub_u32_e32 v19, 0x3f1, v17
	v_med3_i32 v6, v18, 0, 13
	v_and_or_b32 v14, v16, s10, v14
	v_or_b32_e32 v18, 0x1000, v1
	v_add_u32_e32 v12, 0xfffffc10, v12
	v_med3_i32 v16, v19, 0, 13
	v_cmp_ne_u32_e32 vcc, 0, v1
	v_or_b32_e32 v20, 0x1000, v14
	v_lshrrev_b32_e32 v22, v6, v18
	v_add_u32_e32 v17, 0xfffffc10, v17
	v_lshl_or_b32 v19, v12, 12, v1
	v_cndmask_b32_e64 v1, 0, 1, vcc
	v_cmp_ne_u32_e32 vcc, 0, v14
	v_lshrrev_b32_e32 v23, v16, v20
	v_lshlrev_b32_e32 v6, v6, v22
	v_lshl_or_b32 v21, v17, 12, v14
	v_cndmask_b32_e64 v14, 0, 1, vcc
	v_lshlrev_b32_e32 v16, v16, v23
	v_cmp_ne_u32_e32 vcc, v6, v18
	v_cndmask_b32_e64 v6, 0, 1, vcc
	v_cmp_ne_u32_e32 vcc, v16, v20
	v_cndmask_b32_e64 v16, 0, 1, vcc
	v_or_b32_e32 v6, v22, v6
	v_cmp_gt_i32_e32 vcc, 1, v12
	v_cndmask_b32_e32 v6, v19, v6, vcc
	v_or_b32_e32 v16, v23, v16
	v_cmp_gt_i32_e32 vcc, 1, v17
	v_and_b32_e32 v18, 7, v6
	v_cndmask_b32_e32 v16, v21, v16, vcc
	v_cmp_lt_i32_e32 vcc, 5, v18
	v_cmp_eq_u32_e64 s[0:1], 3, v18
	v_lshrrev_b32_e32 v6, 2, v6
	v_and_b32_e32 v19, 7, v16
	s_or_b64 vcc, s[0:1], vcc
	v_cmp_lt_i32_e64 s[2:3], 5, v19
	v_cmp_eq_u32_e64 s[4:5], 3, v19
	v_addc_co_u32_e32 v6, vcc, 0, v6, vcc
	v_lshrrev_b32_e32 v16, 2, v16
	s_or_b64 vcc, s[4:5], s[2:3]
	v_addc_co_u32_e32 v16, vcc, 0, v16, vcc
	v_cmp_gt_i32_e32 vcc, 31, v12
	v_cndmask_b32_e32 v6, v2, v6, vcc
	v_cmp_gt_i32_e32 vcc, 31, v17
	v_lshl_or_b32 v1, v1, 9, v2
	v_cndmask_b32_e32 v16, v2, v16, vcc
	v_cmp_eq_u32_e32 vcc, s11, v12
	v_lshrrev_b32_e32 v13, 16, v13
	v_lshl_or_b32 v14, v14, 9, v2
	v_cndmask_b32_e32 v1, v6, v1, vcc
	v_cmp_eq_u32_e32 vcc, s11, v17
	v_lshrrev_b32_e32 v15, 16, v15
	v_cndmask_b32_e32 v6, v16, v14, vcc
	v_and_or_b32 v1, v13, s14, v1
	v_and_or_b32 v6, v15, s14, v6
	v_and_b32_e32 v1, 0xffff, v1
	v_lshl_or_b32 v1, v6, 16, v1
	global_store_dword v[8:9], v1, off
	global_load_dword v1, v[36:37], off offset:868
	v_lshrrev_b32_e32 v6, 16, v7
	s_waitcnt vmcnt(0)
	v_mul_f16_sdwa v8, v6, v1 dst_sel:DWORD dst_unused:UNUSED_PAD src0_sel:DWORD src1_sel:WORD_1
	v_fma_f16 v8, v7, v1, v8
	v_mul_f16_sdwa v7, v7, v1 dst_sel:DWORD dst_unused:UNUSED_PAD src0_sel:DWORD src1_sel:WORD_1
	v_cvt_f32_f16_e32 v8, v8
	v_fma_f16 v1, v1, v6, -v7
	v_cvt_f32_f16_e32 v1, v1
	v_cvt_f64_f32_e32 v[6:7], v8
	v_cvt_f64_f32_e32 v[8:9], v1
	v_mov_b32_e32 v1, 0xc8
	v_mul_f64 v[6:7], v[6:7], s[12:13]
	v_mad_u64_u32 v[10:11], s[0:1], s8, v1, v[10:11]
	v_mul_f64 v[8:9], v[8:9], s[12:13]
	v_add_u32_e32 v11, s7, v11
	v_and_or_b32 v6, v7, s15, v6
	v_cmp_ne_u32_e32 vcc, 0, v6
	v_lshrrev_b32_e32 v12, 8, v7
	v_and_or_b32 v8, v9, s15, v8
	v_bfe_u32 v13, v7, 20, 11
	v_cndmask_b32_e64 v6, 0, 1, vcc
	v_cmp_ne_u32_e32 vcc, 0, v8
	v_lshrrev_b32_e32 v14, 8, v9
	v_bfe_u32 v15, v9, 20, 11
	v_sub_u32_e32 v16, 0x3f1, v13
	v_cndmask_b32_e64 v8, 0, 1, vcc
	v_and_or_b32 v6, v12, s10, v6
	v_sub_u32_e32 v17, 0x3f1, v15
	v_med3_i32 v12, v16, 0, 13
	v_and_or_b32 v8, v14, s10, v8
	v_or_b32_e32 v16, 0x1000, v6
	v_add_u32_e32 v13, 0xfffffc10, v13
	v_med3_i32 v14, v17, 0, 13
	v_cmp_ne_u32_e32 vcc, 0, v6
	v_or_b32_e32 v18, 0x1000, v8
	v_lshrrev_b32_e32 v20, v12, v16
	v_add_u32_e32 v15, 0xfffffc10, v15
	v_lshl_or_b32 v17, v13, 12, v6
	v_cndmask_b32_e64 v6, 0, 1, vcc
	v_cmp_ne_u32_e32 vcc, 0, v8
	v_lshrrev_b32_e32 v21, v14, v18
	v_lshlrev_b32_e32 v12, v12, v20
	v_lshl_or_b32 v19, v15, 12, v8
	v_cndmask_b32_e64 v8, 0, 1, vcc
	v_lshlrev_b32_e32 v14, v14, v21
	v_cmp_ne_u32_e32 vcc, v12, v16
	v_cndmask_b32_e64 v12, 0, 1, vcc
	v_cmp_ne_u32_e32 vcc, v14, v18
	v_cndmask_b32_e64 v14, 0, 1, vcc
	v_or_b32_e32 v12, v20, v12
	v_cmp_gt_i32_e32 vcc, 1, v13
	v_cndmask_b32_e32 v12, v17, v12, vcc
	v_or_b32_e32 v14, v21, v14
	v_cmp_gt_i32_e32 vcc, 1, v15
	v_and_b32_e32 v16, 7, v12
	v_cndmask_b32_e32 v14, v19, v14, vcc
	v_cmp_lt_i32_e32 vcc, 5, v16
	v_cmp_eq_u32_e64 s[0:1], 3, v16
	v_lshrrev_b32_e32 v12, 2, v12
	v_and_b32_e32 v17, 7, v14
	s_or_b64 vcc, s[0:1], vcc
	v_cmp_lt_i32_e64 s[2:3], 5, v17
	v_cmp_eq_u32_e64 s[4:5], 3, v17
	v_addc_co_u32_e32 v12, vcc, 0, v12, vcc
	v_lshrrev_b32_e32 v14, 2, v14
	s_or_b64 vcc, s[4:5], s[2:3]
	v_addc_co_u32_e32 v14, vcc, 0, v14, vcc
	v_cmp_gt_i32_e32 vcc, 31, v13
	v_cndmask_b32_e32 v12, v2, v12, vcc
	v_cmp_gt_i32_e32 vcc, 31, v15
	v_lshl_or_b32 v6, v6, 9, v2
	v_cndmask_b32_e32 v14, v2, v14, vcc
	v_cmp_eq_u32_e32 vcc, s11, v13
	v_lshrrev_b32_e32 v7, 16, v7
	v_lshl_or_b32 v8, v8, 9, v2
	v_cndmask_b32_e32 v6, v12, v6, vcc
	v_cmp_eq_u32_e32 vcc, s11, v15
	v_lshrrev_b32_e32 v9, 16, v9
	v_cndmask_b32_e32 v8, v14, v8, vcc
	v_and_or_b32 v6, v7, s14, v6
	v_and_or_b32 v7, v9, s14, v8
	v_and_b32_e32 v6, 0xffff, v6
	v_lshl_or_b32 v6, v7, 16, v6
	global_store_dword v[10:11], v6, off
	global_load_dword v7, v[36:37], off offset:968
	ds_read2_b32 v[5:6], v5 offset0:114 offset1:139
	s_waitcnt lgkmcnt(0)
	v_lshrrev_b32_e32 v8, 16, v5
	s_waitcnt vmcnt(0)
	v_mul_f16_sdwa v9, v8, v7 dst_sel:DWORD dst_unused:UNUSED_PAD src0_sel:DWORD src1_sel:WORD_1
	v_fma_f16 v9, v5, v7, v9
	v_mul_f16_sdwa v5, v5, v7 dst_sel:DWORD dst_unused:UNUSED_PAD src0_sel:DWORD src1_sel:WORD_1
	v_cvt_f32_f16_e32 v9, v9
	v_fma_f16 v5, v7, v8, -v5
	v_cvt_f32_f16_e32 v5, v5
	v_cvt_f64_f32_e32 v[7:8], v9
	v_add_co_u32_e32 v9, vcc, s6, v10
	v_cvt_f64_f32_e32 v[12:13], v5
	v_mul_f64 v[7:8], v[7:8], s[12:13]
	v_addc_co_u32_e32 v10, vcc, v11, v0, vcc
	v_mul_f64 v[12:13], v[12:13], s[12:13]
	v_and_or_b32 v5, v8, s15, v7
	v_cmp_ne_u32_e32 vcc, 0, v5
	v_lshrrev_b32_e32 v7, 8, v8
	v_and_or_b32 v12, v13, s15, v12
	v_bfe_u32 v11, v8, 20, 11
	v_cndmask_b32_e64 v5, 0, 1, vcc
	v_cmp_ne_u32_e32 vcc, 0, v12
	v_lshrrev_b32_e32 v14, 8, v13
	v_bfe_u32 v15, v13, 20, 11
	v_sub_u32_e32 v16, 0x3f1, v11
	v_cndmask_b32_e64 v12, 0, 1, vcc
	v_and_or_b32 v5, v7, s10, v5
	v_sub_u32_e32 v17, 0x3f1, v15
	v_med3_i32 v7, v16, 0, 13
	v_and_or_b32 v12, v14, s10, v12
	v_or_b32_e32 v16, 0x1000, v5
	v_add_u32_e32 v11, 0xfffffc10, v11
	v_med3_i32 v14, v17, 0, 13
	v_cmp_ne_u32_e32 vcc, 0, v5
	v_or_b32_e32 v18, 0x1000, v12
	v_lshrrev_b32_e32 v20, v7, v16
	v_add_u32_e32 v15, 0xfffffc10, v15
	v_lshl_or_b32 v17, v11, 12, v5
	v_cndmask_b32_e64 v5, 0, 1, vcc
	v_cmp_ne_u32_e32 vcc, 0, v12
	v_lshrrev_b32_e32 v21, v14, v18
	v_lshlrev_b32_e32 v7, v7, v20
	v_lshl_or_b32 v19, v15, 12, v12
	v_cndmask_b32_e64 v12, 0, 1, vcc
	v_lshlrev_b32_e32 v14, v14, v21
	v_cmp_ne_u32_e32 vcc, v7, v16
	v_cndmask_b32_e64 v7, 0, 1, vcc
	v_cmp_ne_u32_e32 vcc, v14, v18
	v_cndmask_b32_e64 v14, 0, 1, vcc
	v_or_b32_e32 v7, v20, v7
	v_cmp_gt_i32_e32 vcc, 1, v11
	v_cndmask_b32_e32 v7, v17, v7, vcc
	v_or_b32_e32 v14, v21, v14
	v_cmp_gt_i32_e32 vcc, 1, v15
	v_and_b32_e32 v16, 7, v7
	v_cndmask_b32_e32 v14, v19, v14, vcc
	v_cmp_lt_i32_e32 vcc, 5, v16
	v_cmp_eq_u32_e64 s[0:1], 3, v16
	v_lshrrev_b32_e32 v7, 2, v7
	v_and_b32_e32 v17, 7, v14
	s_or_b64 vcc, s[0:1], vcc
	v_cmp_lt_i32_e64 s[2:3], 5, v17
	v_cmp_eq_u32_e64 s[4:5], 3, v17
	v_addc_co_u32_e32 v7, vcc, 0, v7, vcc
	v_lshrrev_b32_e32 v14, 2, v14
	s_or_b64 vcc, s[4:5], s[2:3]
	v_addc_co_u32_e32 v14, vcc, 0, v14, vcc
	v_cmp_gt_i32_e32 vcc, 31, v11
	v_cndmask_b32_e32 v7, v2, v7, vcc
	v_cmp_gt_i32_e32 vcc, 31, v15
	v_lshl_or_b32 v5, v5, 9, v2
	v_cndmask_b32_e32 v14, v2, v14, vcc
	v_cmp_eq_u32_e32 vcc, s11, v11
	v_lshrrev_b32_e32 v8, 16, v8
	v_lshl_or_b32 v12, v12, 9, v2
	v_cndmask_b32_e32 v5, v7, v5, vcc
	v_cmp_eq_u32_e32 vcc, s11, v15
	v_lshrrev_b32_e32 v13, 16, v13
	v_cndmask_b32_e32 v7, v14, v12, vcc
	v_and_or_b32 v5, v8, s14, v5
	v_and_or_b32 v7, v13, s14, v7
	v_and_b32_e32 v5, 0xffff, v5
	v_lshl_or_b32 v5, v7, 16, v5
	global_store_dword v[9:10], v5, off
	global_load_dword v5, v[36:37], off offset:1068
	v_lshrrev_b32_e32 v7, 16, v6
	v_add_co_u32_e32 v9, vcc, s6, v9
	v_addc_co_u32_e32 v10, vcc, v10, v0, vcc
	s_waitcnt vmcnt(0)
	v_mul_f16_sdwa v8, v7, v5 dst_sel:DWORD dst_unused:UNUSED_PAD src0_sel:DWORD src1_sel:WORD_1
	v_fma_f16 v8, v6, v5, v8
	v_mul_f16_sdwa v6, v6, v5 dst_sel:DWORD dst_unused:UNUSED_PAD src0_sel:DWORD src1_sel:WORD_1
	v_cvt_f32_f16_e32 v8, v8
	v_fma_f16 v5, v5, v7, -v6
	v_cvt_f32_f16_e32 v7, v5
	v_cvt_f64_f32_e32 v[5:6], v8
	v_cvt_f64_f32_e32 v[7:8], v7
	v_mul_f64 v[5:6], v[5:6], s[12:13]
	v_mul_f64 v[7:8], v[7:8], s[12:13]
	v_and_or_b32 v5, v6, s15, v5
	v_cmp_ne_u32_e32 vcc, 0, v5
	v_and_or_b32 v7, v8, s15, v7
	v_lshrrev_b32_e32 v11, 8, v6
	v_bfe_u32 v12, v6, 20, 11
	v_cndmask_b32_e64 v5, 0, 1, vcc
	v_cmp_ne_u32_e32 vcc, 0, v7
	v_lshrrev_b32_e32 v13, 8, v8
	v_bfe_u32 v14, v8, 20, 11
	v_sub_u32_e32 v15, 0x3f1, v12
	v_cndmask_b32_e64 v7, 0, 1, vcc
	v_and_or_b32 v5, v11, s10, v5
	v_sub_u32_e32 v16, 0x3f1, v14
	v_med3_i32 v11, v15, 0, 13
	v_and_or_b32 v7, v13, s10, v7
	v_or_b32_e32 v15, 0x1000, v5
	v_add_u32_e32 v12, 0xfffffc10, v12
	v_med3_i32 v13, v16, 0, 13
	v_cmp_ne_u32_e32 vcc, 0, v5
	v_or_b32_e32 v17, 0x1000, v7
	v_lshrrev_b32_e32 v19, v11, v15
	v_add_u32_e32 v14, 0xfffffc10, v14
	v_lshl_or_b32 v16, v12, 12, v5
	v_cndmask_b32_e64 v5, 0, 1, vcc
	v_cmp_ne_u32_e32 vcc, 0, v7
	v_lshrrev_b32_e32 v20, v13, v17
	v_lshlrev_b32_e32 v11, v11, v19
	v_lshl_or_b32 v18, v14, 12, v7
	v_cndmask_b32_e64 v7, 0, 1, vcc
	v_lshlrev_b32_e32 v13, v13, v20
	v_cmp_ne_u32_e32 vcc, v11, v15
	v_cndmask_b32_e64 v11, 0, 1, vcc
	v_cmp_ne_u32_e32 vcc, v13, v17
	v_cndmask_b32_e64 v13, 0, 1, vcc
	v_or_b32_e32 v11, v19, v11
	v_cmp_gt_i32_e32 vcc, 1, v12
	v_cndmask_b32_e32 v11, v16, v11, vcc
	v_or_b32_e32 v13, v20, v13
	v_cmp_gt_i32_e32 vcc, 1, v14
	v_and_b32_e32 v15, 7, v11
	v_cndmask_b32_e32 v13, v18, v13, vcc
	v_cmp_lt_i32_e32 vcc, 5, v15
	v_cmp_eq_u32_e64 s[0:1], 3, v15
	v_lshrrev_b32_e32 v11, 2, v11
	v_and_b32_e32 v16, 7, v13
	s_or_b64 vcc, s[0:1], vcc
	v_cmp_lt_i32_e64 s[2:3], 5, v16
	v_cmp_eq_u32_e64 s[4:5], 3, v16
	v_addc_co_u32_e32 v11, vcc, 0, v11, vcc
	v_lshrrev_b32_e32 v13, 2, v13
	s_or_b64 vcc, s[4:5], s[2:3]
	v_addc_co_u32_e32 v13, vcc, 0, v13, vcc
	v_cmp_gt_i32_e32 vcc, 31, v12
	v_cndmask_b32_e32 v11, v2, v11, vcc
	v_cmp_gt_i32_e32 vcc, 31, v14
	v_lshl_or_b32 v5, v5, 9, v2
	v_cndmask_b32_e32 v13, v2, v13, vcc
	v_cmp_eq_u32_e32 vcc, s11, v12
	v_lshrrev_b32_e32 v6, 16, v6
	v_lshl_or_b32 v7, v7, 9, v2
	v_cndmask_b32_e32 v5, v11, v5, vcc
	v_cmp_eq_u32_e32 vcc, s11, v14
	v_lshrrev_b32_e32 v8, 16, v8
	v_cndmask_b32_e32 v7, v13, v7, vcc
	v_and_or_b32 v5, v6, s14, v5
	v_and_or_b32 v6, v8, s14, v7
	v_and_b32_e32 v5, 0xffff, v5
	v_lshl_or_b32 v5, v6, 16, v5
	global_store_dword v[9:10], v5, off
	global_load_dword v7, v[36:37], off offset:1168
	ds_read2_b32 v[5:6], v39 offset0:36 offset1:61
	v_add_co_u32_e32 v9, vcc, s6, v9
	v_addc_co_u32_e32 v10, vcc, v10, v0, vcc
	s_waitcnt lgkmcnt(0)
	v_lshrrev_b32_e32 v8, 16, v5
	s_waitcnt vmcnt(0)
	v_mul_f16_sdwa v11, v8, v7 dst_sel:DWORD dst_unused:UNUSED_PAD src0_sel:DWORD src1_sel:WORD_1
	v_fma_f16 v11, v5, v7, v11
	v_mul_f16_sdwa v5, v5, v7 dst_sel:DWORD dst_unused:UNUSED_PAD src0_sel:DWORD src1_sel:WORD_1
	v_cvt_f32_f16_e32 v11, v11
	v_fma_f16 v5, v7, v8, -v5
	v_cvt_f32_f16_e32 v5, v5
	v_cvt_f64_f32_e32 v[7:8], v11
	v_cvt_f64_f32_e32 v[11:12], v5
	v_mul_f64 v[7:8], v[7:8], s[12:13]
	v_mul_f64 v[11:12], v[11:12], s[12:13]
	v_and_or_b32 v5, v8, s15, v7
	v_cmp_ne_u32_e32 vcc, 0, v5
	v_and_or_b32 v11, v12, s15, v11
	v_lshrrev_b32_e32 v7, 8, v8
	v_bfe_u32 v13, v8, 20, 11
	v_cndmask_b32_e64 v5, 0, 1, vcc
	v_cmp_ne_u32_e32 vcc, 0, v11
	v_lshrrev_b32_e32 v14, 8, v12
	v_bfe_u32 v15, v12, 20, 11
	v_sub_u32_e32 v16, 0x3f1, v13
	v_cndmask_b32_e64 v11, 0, 1, vcc
	v_and_or_b32 v5, v7, s10, v5
	v_sub_u32_e32 v17, 0x3f1, v15
	v_med3_i32 v7, v16, 0, 13
	v_and_or_b32 v11, v14, s10, v11
	v_or_b32_e32 v16, 0x1000, v5
	v_add_u32_e32 v13, 0xfffffc10, v13
	v_med3_i32 v14, v17, 0, 13
	v_cmp_ne_u32_e32 vcc, 0, v5
	v_or_b32_e32 v18, 0x1000, v11
	v_lshrrev_b32_e32 v20, v7, v16
	v_add_u32_e32 v15, 0xfffffc10, v15
	v_lshl_or_b32 v17, v13, 12, v5
	v_cndmask_b32_e64 v5, 0, 1, vcc
	v_cmp_ne_u32_e32 vcc, 0, v11
	v_lshrrev_b32_e32 v21, v14, v18
	v_lshlrev_b32_e32 v7, v7, v20
	v_lshl_or_b32 v19, v15, 12, v11
	v_cndmask_b32_e64 v11, 0, 1, vcc
	v_lshlrev_b32_e32 v14, v14, v21
	v_cmp_ne_u32_e32 vcc, v7, v16
	v_cndmask_b32_e64 v7, 0, 1, vcc
	v_cmp_ne_u32_e32 vcc, v14, v18
	v_cndmask_b32_e64 v14, 0, 1, vcc
	v_or_b32_e32 v7, v20, v7
	v_cmp_gt_i32_e32 vcc, 1, v13
	v_cndmask_b32_e32 v7, v17, v7, vcc
	v_or_b32_e32 v14, v21, v14
	v_cmp_gt_i32_e32 vcc, 1, v15
	v_and_b32_e32 v16, 7, v7
	v_cndmask_b32_e32 v14, v19, v14, vcc
	v_cmp_lt_i32_e32 vcc, 5, v16
	v_cmp_eq_u32_e64 s[0:1], 3, v16
	v_lshrrev_b32_e32 v7, 2, v7
	v_and_b32_e32 v17, 7, v14
	s_or_b64 vcc, s[0:1], vcc
	v_cmp_lt_i32_e64 s[2:3], 5, v17
	v_cmp_eq_u32_e64 s[4:5], 3, v17
	v_addc_co_u32_e32 v7, vcc, 0, v7, vcc
	v_lshrrev_b32_e32 v14, 2, v14
	s_or_b64 vcc, s[4:5], s[2:3]
	v_addc_co_u32_e32 v14, vcc, 0, v14, vcc
	v_cmp_gt_i32_e32 vcc, 31, v13
	v_cndmask_b32_e32 v7, v2, v7, vcc
	v_cmp_gt_i32_e32 vcc, 31, v15
	v_lshl_or_b32 v5, v5, 9, v2
	v_cndmask_b32_e32 v14, v2, v14, vcc
	v_cmp_eq_u32_e32 vcc, s11, v13
	v_lshrrev_b32_e32 v8, 16, v8
	v_lshl_or_b32 v11, v11, 9, v2
	v_cndmask_b32_e32 v5, v7, v5, vcc
	v_cmp_eq_u32_e32 vcc, s11, v15
	v_lshrrev_b32_e32 v12, 16, v12
	v_cndmask_b32_e32 v7, v14, v11, vcc
	v_and_or_b32 v5, v8, s14, v5
	v_and_or_b32 v7, v12, s14, v7
	v_and_b32_e32 v5, 0xffff, v5
	v_lshl_or_b32 v5, v7, 16, v5
	global_store_dword v[9:10], v5, off
	global_load_dword v5, v[36:37], off offset:1268
	v_lshrrev_b32_e32 v7, 16, v6
	v_add_co_u32_e32 v9, vcc, s6, v9
	v_addc_co_u32_e32 v10, vcc, v10, v0, vcc
	s_waitcnt vmcnt(0)
	v_mul_f16_sdwa v8, v7, v5 dst_sel:DWORD dst_unused:UNUSED_PAD src0_sel:DWORD src1_sel:WORD_1
	v_fma_f16 v8, v6, v5, v8
	v_mul_f16_sdwa v6, v6, v5 dst_sel:DWORD dst_unused:UNUSED_PAD src0_sel:DWORD src1_sel:WORD_1
	v_cvt_f32_f16_e32 v8, v8
	v_fma_f16 v5, v5, v7, -v6
	v_cvt_f32_f16_e32 v7, v5
	v_cvt_f64_f32_e32 v[5:6], v8
	v_cvt_f64_f32_e32 v[7:8], v7
	v_mul_f64 v[5:6], v[5:6], s[12:13]
	v_mul_f64 v[7:8], v[7:8], s[12:13]
	v_and_or_b32 v5, v6, s15, v5
	v_cmp_ne_u32_e32 vcc, 0, v5
	v_and_or_b32 v7, v8, s15, v7
	v_lshrrev_b32_e32 v11, 8, v6
	v_bfe_u32 v12, v6, 20, 11
	v_cndmask_b32_e64 v5, 0, 1, vcc
	v_cmp_ne_u32_e32 vcc, 0, v7
	v_lshrrev_b32_e32 v13, 8, v8
	v_bfe_u32 v14, v8, 20, 11
	v_sub_u32_e32 v15, 0x3f1, v12
	v_cndmask_b32_e64 v7, 0, 1, vcc
	v_and_or_b32 v5, v11, s10, v5
	v_sub_u32_e32 v16, 0x3f1, v14
	v_med3_i32 v11, v15, 0, 13
	v_and_or_b32 v7, v13, s10, v7
	v_or_b32_e32 v15, 0x1000, v5
	v_add_u32_e32 v12, 0xfffffc10, v12
	v_med3_i32 v13, v16, 0, 13
	v_cmp_ne_u32_e32 vcc, 0, v5
	v_or_b32_e32 v17, 0x1000, v7
	v_lshrrev_b32_e32 v19, v11, v15
	v_add_u32_e32 v14, 0xfffffc10, v14
	v_lshl_or_b32 v16, v12, 12, v5
	v_cndmask_b32_e64 v5, 0, 1, vcc
	v_cmp_ne_u32_e32 vcc, 0, v7
	v_lshrrev_b32_e32 v20, v13, v17
	v_lshlrev_b32_e32 v11, v11, v19
	v_lshl_or_b32 v18, v14, 12, v7
	v_cndmask_b32_e64 v7, 0, 1, vcc
	v_lshlrev_b32_e32 v13, v13, v20
	v_cmp_ne_u32_e32 vcc, v11, v15
	v_cndmask_b32_e64 v11, 0, 1, vcc
	v_cmp_ne_u32_e32 vcc, v13, v17
	v_cndmask_b32_e64 v13, 0, 1, vcc
	v_or_b32_e32 v11, v19, v11
	v_cmp_gt_i32_e32 vcc, 1, v12
	v_cndmask_b32_e32 v11, v16, v11, vcc
	v_or_b32_e32 v13, v20, v13
	v_cmp_gt_i32_e32 vcc, 1, v14
	v_and_b32_e32 v15, 7, v11
	v_cndmask_b32_e32 v13, v18, v13, vcc
	v_cmp_lt_i32_e32 vcc, 5, v15
	v_cmp_eq_u32_e64 s[0:1], 3, v15
	v_lshrrev_b32_e32 v11, 2, v11
	v_and_b32_e32 v16, 7, v13
	s_or_b64 vcc, s[0:1], vcc
	v_cmp_lt_i32_e64 s[2:3], 5, v16
	v_cmp_eq_u32_e64 s[4:5], 3, v16
	v_addc_co_u32_e32 v11, vcc, 0, v11, vcc
	v_lshrrev_b32_e32 v13, 2, v13
	s_or_b64 vcc, s[4:5], s[2:3]
	v_addc_co_u32_e32 v13, vcc, 0, v13, vcc
	v_cmp_gt_i32_e32 vcc, 31, v12
	v_cndmask_b32_e32 v11, v2, v11, vcc
	v_cmp_gt_i32_e32 vcc, 31, v14
	v_lshl_or_b32 v5, v5, 9, v2
	v_cndmask_b32_e32 v13, v2, v13, vcc
	v_cmp_eq_u32_e32 vcc, s11, v12
	v_lshrrev_b32_e32 v6, 16, v6
	v_lshl_or_b32 v7, v7, 9, v2
	v_cndmask_b32_e32 v5, v11, v5, vcc
	v_cmp_eq_u32_e32 vcc, s11, v14
	v_lshrrev_b32_e32 v8, 16, v8
	v_cndmask_b32_e32 v7, v13, v7, vcc
	v_and_or_b32 v5, v6, s14, v5
	v_and_or_b32 v6, v8, s14, v7
	v_and_b32_e32 v5, 0xffff, v5
	v_lshl_or_b32 v5, v6, 16, v5
	global_store_dword v[9:10], v5, off
	global_load_dword v7, v[36:37], off offset:1368
	ds_read2_b32 v[5:6], v39 offset0:86 offset1:111
	v_add_co_u32_e32 v9, vcc, s6, v9
	v_addc_co_u32_e32 v10, vcc, v10, v0, vcc
	s_waitcnt lgkmcnt(0)
	v_lshrrev_b32_e32 v8, 16, v5
	s_waitcnt vmcnt(0)
	v_mul_f16_sdwa v11, v8, v7 dst_sel:DWORD dst_unused:UNUSED_PAD src0_sel:DWORD src1_sel:WORD_1
	v_fma_f16 v11, v5, v7, v11
	v_mul_f16_sdwa v5, v5, v7 dst_sel:DWORD dst_unused:UNUSED_PAD src0_sel:DWORD src1_sel:WORD_1
	v_cvt_f32_f16_e32 v11, v11
	v_fma_f16 v5, v7, v8, -v5
	v_cvt_f32_f16_e32 v5, v5
	v_cvt_f64_f32_e32 v[7:8], v11
	v_cvt_f64_f32_e32 v[11:12], v5
	v_mul_f64 v[7:8], v[7:8], s[12:13]
	v_mul_f64 v[11:12], v[11:12], s[12:13]
	v_and_or_b32 v5, v8, s15, v7
	v_cmp_ne_u32_e32 vcc, 0, v5
	v_and_or_b32 v11, v12, s15, v11
	v_lshrrev_b32_e32 v7, 8, v8
	v_bfe_u32 v13, v8, 20, 11
	v_cndmask_b32_e64 v5, 0, 1, vcc
	v_cmp_ne_u32_e32 vcc, 0, v11
	v_lshrrev_b32_e32 v14, 8, v12
	v_bfe_u32 v15, v12, 20, 11
	v_sub_u32_e32 v16, 0x3f1, v13
	v_cndmask_b32_e64 v11, 0, 1, vcc
	v_and_or_b32 v5, v7, s10, v5
	v_sub_u32_e32 v17, 0x3f1, v15
	v_med3_i32 v7, v16, 0, 13
	v_and_or_b32 v11, v14, s10, v11
	v_or_b32_e32 v16, 0x1000, v5
	v_add_u32_e32 v13, 0xfffffc10, v13
	v_med3_i32 v14, v17, 0, 13
	v_cmp_ne_u32_e32 vcc, 0, v5
	v_or_b32_e32 v18, 0x1000, v11
	v_lshrrev_b32_e32 v20, v7, v16
	v_add_u32_e32 v15, 0xfffffc10, v15
	v_lshl_or_b32 v17, v13, 12, v5
	v_cndmask_b32_e64 v5, 0, 1, vcc
	v_cmp_ne_u32_e32 vcc, 0, v11
	v_lshrrev_b32_e32 v21, v14, v18
	v_lshlrev_b32_e32 v7, v7, v20
	v_lshl_or_b32 v19, v15, 12, v11
	v_cndmask_b32_e64 v11, 0, 1, vcc
	v_lshlrev_b32_e32 v14, v14, v21
	v_cmp_ne_u32_e32 vcc, v7, v16
	v_cndmask_b32_e64 v7, 0, 1, vcc
	v_cmp_ne_u32_e32 vcc, v14, v18
	v_cndmask_b32_e64 v14, 0, 1, vcc
	v_or_b32_e32 v7, v20, v7
	v_cmp_gt_i32_e32 vcc, 1, v13
	v_cndmask_b32_e32 v7, v17, v7, vcc
	v_or_b32_e32 v14, v21, v14
	v_cmp_gt_i32_e32 vcc, 1, v15
	v_and_b32_e32 v16, 7, v7
	v_cndmask_b32_e32 v14, v19, v14, vcc
	v_cmp_lt_i32_e32 vcc, 5, v16
	v_cmp_eq_u32_e64 s[0:1], 3, v16
	v_lshrrev_b32_e32 v7, 2, v7
	v_and_b32_e32 v17, 7, v14
	s_or_b64 vcc, s[0:1], vcc
	v_cmp_lt_i32_e64 s[2:3], 5, v17
	v_cmp_eq_u32_e64 s[4:5], 3, v17
	v_addc_co_u32_e32 v7, vcc, 0, v7, vcc
	v_lshrrev_b32_e32 v14, 2, v14
	s_or_b64 vcc, s[4:5], s[2:3]
	v_addc_co_u32_e32 v14, vcc, 0, v14, vcc
	v_cmp_gt_i32_e32 vcc, 31, v13
	v_cndmask_b32_e32 v7, v2, v7, vcc
	v_cmp_gt_i32_e32 vcc, 31, v15
	v_lshl_or_b32 v5, v5, 9, v2
	v_cndmask_b32_e32 v14, v2, v14, vcc
	v_cmp_eq_u32_e32 vcc, s11, v13
	v_lshrrev_b32_e32 v8, 16, v8
	v_lshl_or_b32 v11, v11, 9, v2
	v_cndmask_b32_e32 v5, v7, v5, vcc
	v_cmp_eq_u32_e32 vcc, s11, v15
	v_lshrrev_b32_e32 v12, 16, v12
	v_cndmask_b32_e32 v7, v14, v11, vcc
	v_and_or_b32 v5, v8, s14, v5
	v_and_or_b32 v7, v12, s14, v7
	v_and_b32_e32 v5, 0xffff, v5
	v_lshl_or_b32 v5, v7, 16, v5
	global_store_dword v[9:10], v5, off
	global_load_dword v5, v[36:37], off offset:1468
	v_lshrrev_b32_e32 v7, 16, v6
	v_add_co_u32_e32 v9, vcc, s6, v9
	v_addc_co_u32_e32 v10, vcc, v10, v0, vcc
	s_waitcnt vmcnt(0)
	v_mul_f16_sdwa v8, v7, v5 dst_sel:DWORD dst_unused:UNUSED_PAD src0_sel:DWORD src1_sel:WORD_1
	v_fma_f16 v8, v6, v5, v8
	v_mul_f16_sdwa v6, v6, v5 dst_sel:DWORD dst_unused:UNUSED_PAD src0_sel:DWORD src1_sel:WORD_1
	v_cvt_f32_f16_e32 v8, v8
	v_fma_f16 v5, v5, v7, -v6
	v_cvt_f32_f16_e32 v7, v5
	v_cvt_f64_f32_e32 v[5:6], v8
	v_cvt_f64_f32_e32 v[7:8], v7
	v_mul_f64 v[5:6], v[5:6], s[12:13]
	v_mul_f64 v[7:8], v[7:8], s[12:13]
	v_and_or_b32 v0, v6, s15, v5
	v_cmp_ne_u32_e32 vcc, 0, v0
	v_and_or_b32 v7, v8, s15, v7
	v_lshrrev_b32_e32 v5, 8, v6
	v_bfe_u32 v11, v6, 20, 11
	v_cndmask_b32_e64 v0, 0, 1, vcc
	v_cmp_ne_u32_e32 vcc, 0, v7
	v_lshrrev_b32_e32 v12, 8, v8
	v_bfe_u32 v13, v8, 20, 11
	v_sub_u32_e32 v14, 0x3f1, v11
	v_cndmask_b32_e64 v7, 0, 1, vcc
	v_and_or_b32 v0, v5, s10, v0
	v_sub_u32_e32 v15, 0x3f1, v13
	v_med3_i32 v5, v14, 0, 13
	v_and_or_b32 v7, v12, s10, v7
	v_or_b32_e32 v14, 0x1000, v0
	v_add_u32_e32 v11, 0xfffffc10, v11
	v_med3_i32 v12, v15, 0, 13
	v_cmp_ne_u32_e32 vcc, 0, v0
	v_or_b32_e32 v16, 0x1000, v7
	v_lshrrev_b32_e32 v18, v5, v14
	v_add_u32_e32 v13, 0xfffffc10, v13
	v_lshl_or_b32 v15, v11, 12, v0
	v_cndmask_b32_e64 v0, 0, 1, vcc
	v_cmp_ne_u32_e32 vcc, 0, v7
	v_lshrrev_b32_e32 v19, v12, v16
	v_lshlrev_b32_e32 v5, v5, v18
	v_lshl_or_b32 v17, v13, 12, v7
	v_cndmask_b32_e64 v7, 0, 1, vcc
	v_lshlrev_b32_e32 v12, v12, v19
	v_cmp_ne_u32_e32 vcc, v5, v14
	v_cndmask_b32_e64 v5, 0, 1, vcc
	v_cmp_ne_u32_e32 vcc, v12, v16
	v_cndmask_b32_e64 v12, 0, 1, vcc
	v_or_b32_e32 v5, v18, v5
	v_cmp_gt_i32_e32 vcc, 1, v11
	v_cndmask_b32_e32 v5, v15, v5, vcc
	v_or_b32_e32 v12, v19, v12
	v_cmp_gt_i32_e32 vcc, 1, v13
	v_and_b32_e32 v14, 7, v5
	v_cndmask_b32_e32 v12, v17, v12, vcc
	v_cmp_lt_i32_e32 vcc, 5, v14
	v_cmp_eq_u32_e64 s[0:1], 3, v14
	v_lshrrev_b32_e32 v5, 2, v5
	v_and_b32_e32 v15, 7, v12
	s_or_b64 vcc, s[0:1], vcc
	v_cmp_lt_i32_e64 s[2:3], 5, v15
	v_cmp_eq_u32_e64 s[4:5], 3, v15
	v_addc_co_u32_e32 v5, vcc, 0, v5, vcc
	v_lshrrev_b32_e32 v12, 2, v12
	s_or_b64 vcc, s[4:5], s[2:3]
	v_addc_co_u32_e32 v12, vcc, 0, v12, vcc
	v_cmp_gt_i32_e32 vcc, 31, v11
	v_cndmask_b32_e32 v5, v2, v5, vcc
	v_cmp_gt_i32_e32 vcc, 31, v13
	v_lshl_or_b32 v0, v0, 9, v2
	v_cndmask_b32_e32 v12, v2, v12, vcc
	v_cmp_eq_u32_e32 vcc, s11, v11
	v_lshrrev_b32_e32 v6, 16, v6
	v_lshl_or_b32 v7, v7, 9, v2
	v_cndmask_b32_e32 v0, v5, v0, vcc
	v_cmp_eq_u32_e32 vcc, s11, v13
	v_lshrrev_b32_e32 v8, 16, v8
	v_cndmask_b32_e32 v5, v12, v7, vcc
	v_and_or_b32 v0, v6, s14, v0
	v_and_or_b32 v5, v8, s14, v5
	v_and_b32_e32 v0, 0xffff, v0
	v_lshl_or_b32 v0, v5, 16, v0
	global_store_dword v[9:10], v0, off
	global_load_dword v11, v[36:37], off offset:1568
	ds_read2_b32 v[5:6], v39 offset0:136 offset1:161
	v_or_b32_e32 v13, 0x188, v71
	v_mad_u64_u32 v[7:8], s[0:1], s8, v13, 0
	s_waitcnt lgkmcnt(0)
	v_lshrrev_b32_e32 v12, 16, v5
	v_mov_b32_e32 v0, v8
	v_mad_u64_u32 v[13:14], s[0:1], s9, v13, v[0:1]
	s_waitcnt vmcnt(0)
	v_mul_f16_sdwa v8, v12, v11 dst_sel:DWORD dst_unused:UNUSED_PAD src0_sel:DWORD src1_sel:WORD_1
	v_fma_f16 v8, v5, v11, v8
	v_mul_f16_sdwa v5, v5, v11 dst_sel:DWORD dst_unused:UNUSED_PAD src0_sel:DWORD src1_sel:WORD_1
	v_cvt_f32_f16_e32 v8, v8
	v_fma_f16 v5, v11, v12, -v5
	v_cvt_f32_f16_e32 v5, v5
	v_cvt_f64_f32_e32 v[11:12], v8
	v_mov_b32_e32 v8, v13
	v_cvt_f64_f32_e32 v[14:15], v5
	v_lshlrev_b64 v[7:8], 2, v[7:8]
	v_mul_f64 v[11:12], v[11:12], s[12:13]
	v_add_co_u32_e32 v3, vcc, v3, v7
	v_mul_f64 v[13:14], v[14:15], s[12:13]
	v_addc_co_u32_e32 v4, vcc, v4, v8, vcc
	v_and_or_b32 v0, v12, s15, v11
	v_cmp_ne_u32_e32 vcc, 0, v0
	v_lshrrev_b32_e32 v5, 8, v12
	v_and_or_b32 v11, v14, s15, v13
	v_bfe_u32 v7, v12, 20, 11
	v_cndmask_b32_e64 v0, 0, 1, vcc
	v_cmp_ne_u32_e32 vcc, 0, v11
	v_lshrrev_b32_e32 v8, 16, v12
	v_lshrrev_b32_e32 v12, 8, v14
	v_bfe_u32 v13, v14, 20, 11
	v_sub_u32_e32 v15, 0x3f1, v7
	v_cndmask_b32_e64 v11, 0, 1, vcc
	v_and_or_b32 v0, v5, s10, v0
	v_sub_u32_e32 v16, 0x3f1, v13
	v_med3_i32 v5, v15, 0, 13
	v_and_or_b32 v11, v12, s10, v11
	v_or_b32_e32 v15, 0x1000, v0
	v_add_u32_e32 v7, 0xfffffc10, v7
	v_med3_i32 v12, v16, 0, 13
	v_cmp_ne_u32_e32 vcc, 0, v0
	v_or_b32_e32 v17, 0x1000, v11
	v_lshrrev_b32_e32 v19, v5, v15
	v_add_u32_e32 v13, 0xfffffc10, v13
	v_lshl_or_b32 v16, v7, 12, v0
	v_cndmask_b32_e64 v0, 0, 1, vcc
	v_cmp_ne_u32_e32 vcc, 0, v11
	v_lshrrev_b32_e32 v20, v12, v17
	v_lshlrev_b32_e32 v5, v5, v19
	v_lshl_or_b32 v18, v13, 12, v11
	v_cndmask_b32_e64 v11, 0, 1, vcc
	v_lshlrev_b32_e32 v12, v12, v20
	v_cmp_ne_u32_e32 vcc, v5, v15
	v_cndmask_b32_e64 v5, 0, 1, vcc
	v_cmp_ne_u32_e32 vcc, v12, v17
	v_cndmask_b32_e64 v12, 0, 1, vcc
	v_or_b32_e32 v5, v19, v5
	v_cmp_gt_i32_e32 vcc, 1, v7
	v_cndmask_b32_e32 v5, v16, v5, vcc
	v_or_b32_e32 v12, v20, v12
	v_cmp_gt_i32_e32 vcc, 1, v13
	v_and_b32_e32 v15, 7, v5
	v_cndmask_b32_e32 v12, v18, v12, vcc
	v_cmp_lt_i32_e32 vcc, 5, v15
	v_cmp_eq_u32_e64 s[0:1], 3, v15
	v_lshrrev_b32_e32 v5, 2, v5
	v_and_b32_e32 v16, 7, v12
	s_or_b64 vcc, s[0:1], vcc
	v_cmp_lt_i32_e64 s[2:3], 5, v16
	v_cmp_eq_u32_e64 s[4:5], 3, v16
	v_addc_co_u32_e32 v5, vcc, 0, v5, vcc
	v_lshrrev_b32_e32 v12, 2, v12
	s_or_b64 vcc, s[4:5], s[2:3]
	v_addc_co_u32_e32 v12, vcc, 0, v12, vcc
	v_cmp_gt_i32_e32 vcc, 31, v7
	v_cndmask_b32_e32 v5, v2, v5, vcc
	v_cmp_gt_i32_e32 vcc, 31, v13
	v_lshl_or_b32 v0, v0, 9, v2
	v_cndmask_b32_e32 v12, v2, v12, vcc
	v_cmp_eq_u32_e32 vcc, s11, v7
	v_lshl_or_b32 v11, v11, 9, v2
	v_cndmask_b32_e32 v0, v5, v0, vcc
	v_cmp_eq_u32_e32 vcc, s11, v13
	v_lshrrev_b32_e32 v14, 16, v14
	v_cndmask_b32_e32 v5, v12, v11, vcc
	v_and_or_b32 v0, v8, s14, v0
	v_and_or_b32 v5, v14, s14, v5
	v_and_b32_e32 v0, 0xffff, v0
	v_lshl_or_b32 v0, v5, 16, v0
	global_store_dword v[3:4], v0, off
	global_load_dword v0, v[36:37], off offset:1668
	v_lshrrev_b32_e32 v3, 16, v6
	s_waitcnt vmcnt(0)
	v_mul_f16_sdwa v4, v3, v0 dst_sel:DWORD dst_unused:UNUSED_PAD src0_sel:DWORD src1_sel:WORD_1
	v_fma_f16 v4, v6, v0, v4
	v_mul_f16_sdwa v5, v6, v0 dst_sel:DWORD dst_unused:UNUSED_PAD src0_sel:DWORD src1_sel:WORD_1
	v_cvt_f32_f16_e32 v4, v4
	v_fma_f16 v0, v0, v3, -v5
	v_cvt_f32_f16_e32 v0, v0
	v_cvt_f64_f32_e32 v[3:4], v4
	v_cvt_f64_f32_e32 v[5:6], v0
	v_mad_u64_u32 v[0:1], s[0:1], s8, v1, v[9:10]
	v_mul_f64 v[3:4], v[3:4], s[12:13]
	v_mul_f64 v[5:6], v[5:6], s[12:13]
	v_add_u32_e32 v1, s7, v1
	v_and_or_b32 v3, v4, s15, v3
	v_and_or_b32 v5, v6, s15, v5
	v_cmp_ne_u32_e32 vcc, 0, v3
	v_lshrrev_b32_e32 v7, 8, v4
	v_bfe_u32 v8, v4, 20, 11
	v_cndmask_b32_e64 v3, 0, 1, vcc
	v_cmp_ne_u32_e32 vcc, 0, v5
	v_lshrrev_b32_e32 v9, 8, v6
	v_bfe_u32 v10, v6, 20, 11
	v_sub_u32_e32 v11, 0x3f1, v8
	v_cndmask_b32_e64 v5, 0, 1, vcc
	v_and_or_b32 v3, v7, s10, v3
	v_sub_u32_e32 v12, 0x3f1, v10
	v_med3_i32 v7, v11, 0, 13
	v_and_or_b32 v5, v9, s10, v5
	v_or_b32_e32 v11, 0x1000, v3
	v_add_u32_e32 v8, 0xfffffc10, v8
	v_med3_i32 v9, v12, 0, 13
	v_cmp_ne_u32_e32 vcc, 0, v3
	v_or_b32_e32 v13, 0x1000, v5
	v_lshrrev_b32_e32 v15, v7, v11
	v_add_u32_e32 v10, 0xfffffc10, v10
	v_lshl_or_b32 v12, v8, 12, v3
	v_cndmask_b32_e64 v3, 0, 1, vcc
	v_cmp_ne_u32_e32 vcc, 0, v5
	v_lshrrev_b32_e32 v16, v9, v13
	v_lshlrev_b32_e32 v7, v7, v15
	v_lshl_or_b32 v14, v10, 12, v5
	v_cndmask_b32_e64 v5, 0, 1, vcc
	v_lshlrev_b32_e32 v9, v9, v16
	v_cmp_ne_u32_e32 vcc, v7, v11
	v_cndmask_b32_e64 v7, 0, 1, vcc
	v_cmp_ne_u32_e32 vcc, v9, v13
	v_cndmask_b32_e64 v9, 0, 1, vcc
	v_or_b32_e32 v7, v15, v7
	v_cmp_gt_i32_e32 vcc, 1, v8
	v_cndmask_b32_e32 v7, v12, v7, vcc
	v_or_b32_e32 v9, v16, v9
	v_cmp_gt_i32_e32 vcc, 1, v10
	v_and_b32_e32 v11, 7, v7
	v_cndmask_b32_e32 v9, v14, v9, vcc
	v_cmp_lt_i32_e32 vcc, 5, v11
	v_cmp_eq_u32_e64 s[0:1], 3, v11
	v_lshrrev_b32_e32 v7, 2, v7
	v_and_b32_e32 v12, 7, v9
	s_or_b64 vcc, s[0:1], vcc
	v_cmp_lt_i32_e64 s[2:3], 5, v12
	v_cmp_eq_u32_e64 s[4:5], 3, v12
	v_addc_co_u32_e32 v7, vcc, 0, v7, vcc
	v_lshrrev_b32_e32 v9, 2, v9
	s_or_b64 vcc, s[4:5], s[2:3]
	v_addc_co_u32_e32 v9, vcc, 0, v9, vcc
	v_cmp_gt_i32_e32 vcc, 31, v8
	v_cndmask_b32_e32 v7, v2, v7, vcc
	v_cmp_gt_i32_e32 vcc, 31, v10
	v_lshl_or_b32 v3, v3, 9, v2
	v_lshl_or_b32 v5, v5, 9, v2
	v_cndmask_b32_e32 v2, v2, v9, vcc
	v_cmp_eq_u32_e32 vcc, s11, v8
	v_lshrrev_b32_e32 v4, 16, v4
	v_cndmask_b32_e32 v3, v7, v3, vcc
	v_cmp_eq_u32_e32 vcc, s11, v10
	v_lshrrev_b32_e32 v6, 16, v6
	v_cndmask_b32_e32 v2, v2, v5, vcc
	v_and_or_b32 v3, v4, s14, v3
	v_and_or_b32 v2, v6, s14, v2
	v_and_b32_e32 v3, 0xffff, v3
	v_lshl_or_b32 v2, v2, 16, v3
	global_store_dword v[0:1], v2, off
.LBB0_15:
	s_endpgm
	.section	.rodata,"a",@progbits
	.p2align	6, 0x0
	.amdhsa_kernel bluestein_single_back_len425_dim1_half_op_CI_CI
		.amdhsa_group_segment_fixed_size 5100
		.amdhsa_private_segment_fixed_size 60
		.amdhsa_kernarg_size 104
		.amdhsa_user_sgpr_count 6
		.amdhsa_user_sgpr_private_segment_buffer 1
		.amdhsa_user_sgpr_dispatch_ptr 0
		.amdhsa_user_sgpr_queue_ptr 0
		.amdhsa_user_sgpr_kernarg_segment_ptr 1
		.amdhsa_user_sgpr_dispatch_id 0
		.amdhsa_user_sgpr_flat_scratch_init 0
		.amdhsa_user_sgpr_private_segment_size 0
		.amdhsa_uses_dynamic_stack 0
		.amdhsa_system_sgpr_private_segment_wavefront_offset 1
		.amdhsa_system_sgpr_workgroup_id_x 1
		.amdhsa_system_sgpr_workgroup_id_y 0
		.amdhsa_system_sgpr_workgroup_id_z 0
		.amdhsa_system_sgpr_workgroup_info 0
		.amdhsa_system_vgpr_workitem_id 0
		.amdhsa_next_free_vgpr 256
		.amdhsa_next_free_sgpr 44
		.amdhsa_reserve_vcc 1
		.amdhsa_reserve_flat_scratch 0
		.amdhsa_float_round_mode_32 0
		.amdhsa_float_round_mode_16_64 0
		.amdhsa_float_denorm_mode_32 3
		.amdhsa_float_denorm_mode_16_64 3
		.amdhsa_dx10_clamp 1
		.amdhsa_ieee_mode 1
		.amdhsa_fp16_overflow 0
		.amdhsa_exception_fp_ieee_invalid_op 0
		.amdhsa_exception_fp_denorm_src 0
		.amdhsa_exception_fp_ieee_div_zero 0
		.amdhsa_exception_fp_ieee_overflow 0
		.amdhsa_exception_fp_ieee_underflow 0
		.amdhsa_exception_fp_ieee_inexact 0
		.amdhsa_exception_int_div_zero 0
	.end_amdhsa_kernel
	.text
.Lfunc_end0:
	.size	bluestein_single_back_len425_dim1_half_op_CI_CI, .Lfunc_end0-bluestein_single_back_len425_dim1_half_op_CI_CI
                                        ; -- End function
	.section	.AMDGPU.csdata,"",@progbits
; Kernel info:
; codeLenInByte = 56588
; NumSgprs: 48
; NumVgprs: 256
; ScratchSize: 60
; MemoryBound: 0
; FloatMode: 240
; IeeeMode: 1
; LDSByteSize: 5100 bytes/workgroup (compile time only)
; SGPRBlocks: 5
; VGPRBlocks: 63
; NumSGPRsForWavesPerEU: 48
; NumVGPRsForWavesPerEU: 256
; Occupancy: 1
; WaveLimiterHint : 1
; COMPUTE_PGM_RSRC2:SCRATCH_EN: 1
; COMPUTE_PGM_RSRC2:USER_SGPR: 6
; COMPUTE_PGM_RSRC2:TRAP_HANDLER: 0
; COMPUTE_PGM_RSRC2:TGID_X_EN: 1
; COMPUTE_PGM_RSRC2:TGID_Y_EN: 0
; COMPUTE_PGM_RSRC2:TGID_Z_EN: 0
; COMPUTE_PGM_RSRC2:TIDIG_COMP_CNT: 0
	.type	__hip_cuid_8261ce98e88c5988,@object ; @__hip_cuid_8261ce98e88c5988
	.section	.bss,"aw",@nobits
	.globl	__hip_cuid_8261ce98e88c5988
__hip_cuid_8261ce98e88c5988:
	.byte	0                               ; 0x0
	.size	__hip_cuid_8261ce98e88c5988, 1

	.ident	"AMD clang version 19.0.0git (https://github.com/RadeonOpenCompute/llvm-project roc-6.4.0 25133 c7fe45cf4b819c5991fe208aaa96edf142730f1d)"
	.section	".note.GNU-stack","",@progbits
	.addrsig
	.addrsig_sym __hip_cuid_8261ce98e88c5988
	.amdgpu_metadata
---
amdhsa.kernels:
  - .args:
      - .actual_access:  read_only
        .address_space:  global
        .offset:         0
        .size:           8
        .value_kind:     global_buffer
      - .actual_access:  read_only
        .address_space:  global
        .offset:         8
        .size:           8
        .value_kind:     global_buffer
      - .actual_access:  read_only
        .address_space:  global
        .offset:         16
        .size:           8
        .value_kind:     global_buffer
      - .actual_access:  read_only
        .address_space:  global
        .offset:         24
        .size:           8
        .value_kind:     global_buffer
      - .actual_access:  read_only
        .address_space:  global
        .offset:         32
        .size:           8
        .value_kind:     global_buffer
      - .offset:         40
        .size:           8
        .value_kind:     by_value
      - .address_space:  global
        .offset:         48
        .size:           8
        .value_kind:     global_buffer
      - .address_space:  global
        .offset:         56
        .size:           8
        .value_kind:     global_buffer
      - .address_space:  global
        .offset:         64
        .size:           8
        .value_kind:     global_buffer
      - .address_space:  global
        .offset:         72
        .size:           8
        .value_kind:     global_buffer
      - .offset:         80
        .size:           4
        .value_kind:     by_value
      - .address_space:  global
        .offset:         88
        .size:           8
        .value_kind:     global_buffer
      - .address_space:  global
        .offset:         96
        .size:           8
        .value_kind:     global_buffer
    .group_segment_fixed_size: 5100
    .kernarg_segment_align: 8
    .kernarg_segment_size: 104
    .language:       OpenCL C
    .language_version:
      - 2
      - 0
    .max_flat_workgroup_size: 51
    .name:           bluestein_single_back_len425_dim1_half_op_CI_CI
    .private_segment_fixed_size: 60
    .sgpr_count:     48
    .sgpr_spill_count: 0
    .symbol:         bluestein_single_back_len425_dim1_half_op_CI_CI.kd
    .uniform_work_group_size: 1
    .uses_dynamic_stack: false
    .vgpr_count:     256
    .vgpr_spill_count: 15
    .wavefront_size: 64
amdhsa.target:   amdgcn-amd-amdhsa--gfx906
amdhsa.version:
  - 1
  - 2
...

	.end_amdgpu_metadata
